;; amdgpu-corpus repo=ROCm/rocFFT kind=compiled arch=gfx1030 opt=O3
	.text
	.amdgcn_target "amdgcn-amd-amdhsa--gfx1030"
	.amdhsa_code_object_version 6
	.protected	fft_rtc_back_len2700_factors_3_10_10_3_3_wgs_90_tpt_90_halfLds_dp_ip_CI_unitstride_sbrr_dirReg ; -- Begin function fft_rtc_back_len2700_factors_3_10_10_3_3_wgs_90_tpt_90_halfLds_dp_ip_CI_unitstride_sbrr_dirReg
	.globl	fft_rtc_back_len2700_factors_3_10_10_3_3_wgs_90_tpt_90_halfLds_dp_ip_CI_unitstride_sbrr_dirReg
	.p2align	8
	.type	fft_rtc_back_len2700_factors_3_10_10_3_3_wgs_90_tpt_90_halfLds_dp_ip_CI_unitstride_sbrr_dirReg,@function
fft_rtc_back_len2700_factors_3_10_10_3_3_wgs_90_tpt_90_halfLds_dp_ip_CI_unitstride_sbrr_dirReg: ; @fft_rtc_back_len2700_factors_3_10_10_3_3_wgs_90_tpt_90_halfLds_dp_ip_CI_unitstride_sbrr_dirReg
; %bb.0:
	s_mov_b64 s[26:27], s[2:3]
	s_mov_b64 s[24:25], s[0:1]
	s_clause 0x2
	s_load_dwordx4 s[8:11], s[4:5], 0x0
	s_load_dwordx2 s[2:3], s[4:5], 0x50
	s_load_dwordx2 s[12:13], s[4:5], 0x18
	v_mul_u32_u24_e32 v1, 0x2d9, v0
	v_mov_b32_e32 v3, 0
	s_add_u32 s24, s24, s7
	s_addc_u32 s25, s25, 0
	v_add_nc_u32_sdwa v5, s6, v1 dst_sel:DWORD dst_unused:UNUSED_PAD src0_sel:DWORD src1_sel:WORD_1
	v_mov_b32_e32 v1, 0
	v_mov_b32_e32 v6, v3
	;; [unrolled: 1-line block ×3, first 2 shown]
	s_waitcnt lgkmcnt(0)
	v_cmp_lt_u64_e64 s0, s[10:11], 2
	s_and_b32 vcc_lo, exec_lo, s0
	s_cbranch_vccnz .LBB0_8
; %bb.1:
	s_load_dwordx2 s[0:1], s[4:5], 0x10
	v_mov_b32_e32 v1, 0
	s_add_u32 s6, s12, 8
	v_mov_b32_e32 v2, 0
	s_addc_u32 s7, s13, 0
	s_mov_b64 s[16:17], 1
	s_waitcnt lgkmcnt(0)
	s_add_u32 s14, s0, 8
	s_addc_u32 s15, s1, 0
.LBB0_2:                                ; =>This Inner Loop Header: Depth=1
	s_load_dwordx2 s[18:19], s[14:15], 0x0
                                        ; implicit-def: $vgpr7_vgpr8
	s_mov_b32 s0, exec_lo
	s_waitcnt lgkmcnt(0)
	v_or_b32_e32 v4, s19, v6
	v_cmpx_ne_u64_e32 0, v[3:4]
	s_xor_b32 s1, exec_lo, s0
	s_cbranch_execz .LBB0_4
; %bb.3:                                ;   in Loop: Header=BB0_2 Depth=1
	v_cvt_f32_u32_e32 v4, s18
	v_cvt_f32_u32_e32 v7, s19
	s_sub_u32 s0, 0, s18
	s_subb_u32 s20, 0, s19
	v_fmac_f32_e32 v4, 0x4f800000, v7
	v_rcp_f32_e32 v4, v4
	v_mul_f32_e32 v4, 0x5f7ffffc, v4
	v_mul_f32_e32 v7, 0x2f800000, v4
	v_trunc_f32_e32 v7, v7
	v_fmac_f32_e32 v4, 0xcf800000, v7
	v_cvt_u32_f32_e32 v7, v7
	v_cvt_u32_f32_e32 v4, v4
	v_mul_lo_u32 v8, s0, v7
	v_mul_hi_u32 v9, s0, v4
	v_mul_lo_u32 v10, s20, v4
	v_add_nc_u32_e32 v8, v9, v8
	v_mul_lo_u32 v9, s0, v4
	v_add_nc_u32_e32 v8, v8, v10
	v_mul_hi_u32 v10, v4, v9
	v_mul_lo_u32 v11, v4, v8
	v_mul_hi_u32 v12, v4, v8
	v_mul_hi_u32 v13, v7, v9
	v_mul_lo_u32 v9, v7, v9
	v_mul_hi_u32 v14, v7, v8
	v_mul_lo_u32 v8, v7, v8
	v_add_co_u32 v10, vcc_lo, v10, v11
	v_add_co_ci_u32_e32 v11, vcc_lo, 0, v12, vcc_lo
	v_add_co_u32 v9, vcc_lo, v10, v9
	v_add_co_ci_u32_e32 v9, vcc_lo, v11, v13, vcc_lo
	v_add_co_ci_u32_e32 v10, vcc_lo, 0, v14, vcc_lo
	v_add_co_u32 v8, vcc_lo, v9, v8
	v_add_co_ci_u32_e32 v9, vcc_lo, 0, v10, vcc_lo
	v_add_co_u32 v4, vcc_lo, v4, v8
	v_add_co_ci_u32_e32 v7, vcc_lo, v7, v9, vcc_lo
	v_mul_hi_u32 v8, s0, v4
	v_mul_lo_u32 v10, s20, v4
	v_mul_lo_u32 v9, s0, v7
	v_add_nc_u32_e32 v8, v8, v9
	v_mul_lo_u32 v9, s0, v4
	v_add_nc_u32_e32 v8, v8, v10
	v_mul_hi_u32 v10, v4, v9
	v_mul_lo_u32 v11, v4, v8
	v_mul_hi_u32 v12, v4, v8
	v_mul_hi_u32 v13, v7, v9
	v_mul_lo_u32 v9, v7, v9
	v_mul_hi_u32 v14, v7, v8
	v_mul_lo_u32 v8, v7, v8
	v_add_co_u32 v10, vcc_lo, v10, v11
	v_add_co_ci_u32_e32 v11, vcc_lo, 0, v12, vcc_lo
	v_add_co_u32 v9, vcc_lo, v10, v9
	v_add_co_ci_u32_e32 v9, vcc_lo, v11, v13, vcc_lo
	v_add_co_ci_u32_e32 v10, vcc_lo, 0, v14, vcc_lo
	v_add_co_u32 v8, vcc_lo, v9, v8
	v_add_co_ci_u32_e32 v9, vcc_lo, 0, v10, vcc_lo
	v_add_co_u32 v4, vcc_lo, v4, v8
	v_add_co_ci_u32_e32 v11, vcc_lo, v7, v9, vcc_lo
	v_mul_hi_u32 v13, v5, v4
	v_mad_u64_u32 v[9:10], null, v6, v4, 0
	v_mad_u64_u32 v[7:8], null, v5, v11, 0
	;; [unrolled: 1-line block ×3, first 2 shown]
	v_add_co_u32 v4, vcc_lo, v13, v7
	v_add_co_ci_u32_e32 v7, vcc_lo, 0, v8, vcc_lo
	v_add_co_u32 v4, vcc_lo, v4, v9
	v_add_co_ci_u32_e32 v4, vcc_lo, v7, v10, vcc_lo
	v_add_co_ci_u32_e32 v7, vcc_lo, 0, v12, vcc_lo
	v_add_co_u32 v4, vcc_lo, v4, v11
	v_add_co_ci_u32_e32 v9, vcc_lo, 0, v7, vcc_lo
	v_mul_lo_u32 v10, s19, v4
	v_mad_u64_u32 v[7:8], null, s18, v4, 0
	v_mul_lo_u32 v11, s18, v9
	v_sub_co_u32 v7, vcc_lo, v5, v7
	v_add3_u32 v8, v8, v11, v10
	v_sub_nc_u32_e32 v10, v6, v8
	v_subrev_co_ci_u32_e64 v10, s0, s19, v10, vcc_lo
	v_add_co_u32 v11, s0, v4, 2
	v_add_co_ci_u32_e64 v12, s0, 0, v9, s0
	v_sub_co_u32 v13, s0, v7, s18
	v_sub_co_ci_u32_e32 v8, vcc_lo, v6, v8, vcc_lo
	v_subrev_co_ci_u32_e64 v10, s0, 0, v10, s0
	v_cmp_le_u32_e32 vcc_lo, s18, v13
	v_cmp_eq_u32_e64 s0, s19, v8
	v_cndmask_b32_e64 v13, 0, -1, vcc_lo
	v_cmp_le_u32_e32 vcc_lo, s19, v10
	v_cndmask_b32_e64 v14, 0, -1, vcc_lo
	v_cmp_le_u32_e32 vcc_lo, s18, v7
	;; [unrolled: 2-line block ×3, first 2 shown]
	v_cndmask_b32_e64 v15, 0, -1, vcc_lo
	v_cmp_eq_u32_e32 vcc_lo, s19, v10
	v_cndmask_b32_e64 v7, v15, v7, s0
	v_cndmask_b32_e32 v10, v14, v13, vcc_lo
	v_add_co_u32 v13, vcc_lo, v4, 1
	v_add_co_ci_u32_e32 v14, vcc_lo, 0, v9, vcc_lo
	v_cmp_ne_u32_e32 vcc_lo, 0, v10
	v_cndmask_b32_e32 v8, v14, v12, vcc_lo
	v_cndmask_b32_e32 v10, v13, v11, vcc_lo
	v_cmp_ne_u32_e32 vcc_lo, 0, v7
	v_cndmask_b32_e32 v8, v9, v8, vcc_lo
	v_cndmask_b32_e32 v7, v4, v10, vcc_lo
.LBB0_4:                                ;   in Loop: Header=BB0_2 Depth=1
	s_andn2_saveexec_b32 s0, s1
	s_cbranch_execz .LBB0_6
; %bb.5:                                ;   in Loop: Header=BB0_2 Depth=1
	v_cvt_f32_u32_e32 v4, s18
	s_sub_i32 s1, 0, s18
	v_rcp_iflag_f32_e32 v4, v4
	v_mul_f32_e32 v4, 0x4f7ffffe, v4
	v_cvt_u32_f32_e32 v4, v4
	v_mul_lo_u32 v7, s1, v4
	v_mul_hi_u32 v7, v4, v7
	v_add_nc_u32_e32 v4, v4, v7
	v_mul_hi_u32 v4, v5, v4
	v_mul_lo_u32 v7, v4, s18
	v_add_nc_u32_e32 v8, 1, v4
	v_sub_nc_u32_e32 v7, v5, v7
	v_subrev_nc_u32_e32 v9, s18, v7
	v_cmp_le_u32_e32 vcc_lo, s18, v7
	v_cndmask_b32_e32 v7, v7, v9, vcc_lo
	v_cndmask_b32_e32 v4, v4, v8, vcc_lo
	v_cmp_le_u32_e32 vcc_lo, s18, v7
	v_add_nc_u32_e32 v8, 1, v4
	v_cndmask_b32_e32 v7, v4, v8, vcc_lo
	v_mov_b32_e32 v8, v3
.LBB0_6:                                ;   in Loop: Header=BB0_2 Depth=1
	s_or_b32 exec_lo, exec_lo, s0
	s_load_dwordx2 s[0:1], s[6:7], 0x0
	v_mul_lo_u32 v4, v8, s18
	v_mul_lo_u32 v11, v7, s19
	v_mad_u64_u32 v[9:10], null, v7, s18, 0
	s_add_u32 s16, s16, 1
	s_addc_u32 s17, s17, 0
	s_add_u32 s6, s6, 8
	s_addc_u32 s7, s7, 0
	;; [unrolled: 2-line block ×3, first 2 shown]
	v_add3_u32 v4, v10, v11, v4
	v_sub_co_u32 v5, vcc_lo, v5, v9
	v_sub_co_ci_u32_e32 v4, vcc_lo, v6, v4, vcc_lo
	s_waitcnt lgkmcnt(0)
	v_mul_lo_u32 v6, s1, v5
	v_mul_lo_u32 v4, s0, v4
	v_mad_u64_u32 v[1:2], null, s0, v5, v[1:2]
	v_cmp_ge_u64_e64 s0, s[16:17], s[10:11]
	s_and_b32 vcc_lo, exec_lo, s0
	v_add3_u32 v2, v6, v2, v4
	s_cbranch_vccnz .LBB0_9
; %bb.7:                                ;   in Loop: Header=BB0_2 Depth=1
	v_mov_b32_e32 v5, v7
	v_mov_b32_e32 v6, v8
	s_branch .LBB0_2
.LBB0_8:
	v_mov_b32_e32 v8, v6
	v_mov_b32_e32 v7, v5
.LBB0_9:
	s_lshl_b64 s[0:1], s[10:11], 3
	v_mul_hi_u32 v5, 0x2d82d83, v0
	s_add_u32 s0, s12, s0
	s_addc_u32 s1, s13, s1
                                        ; implicit-def: $vgpr62_vgpr63
                                        ; implicit-def: $vgpr74_vgpr75
                                        ; implicit-def: $vgpr70_vgpr71
                                        ; implicit-def: $vgpr66_vgpr67
                                        ; implicit-def: $vgpr86_vgpr87
                                        ; implicit-def: $vgpr82_vgpr83
                                        ; implicit-def: $vgpr78_vgpr79
                                        ; implicit-def: $vgpr98_vgpr99
                                        ; implicit-def: $vgpr94_vgpr95
                                        ; implicit-def: $vgpr90_vgpr91
                                        ; implicit-def: $vgpr110_vgpr111
                                        ; implicit-def: $vgpr114_vgpr115
                                        ; implicit-def: $vgpr102_vgpr103
                                        ; implicit-def: $vgpr122_vgpr123
                                        ; implicit-def: $vgpr118_vgpr119
                                        ; implicit-def: $vgpr106_vgpr107
                                        ; implicit-def: $vgpr130_vgpr131
                                        ; implicit-def: $vgpr126_vgpr127
                                        ; implicit-def: $vgpr138_vgpr139
                                        ; implicit-def: $vgpr10_vgpr11
                                        ; implicit-def: $vgpr14_vgpr15
                                        ; implicit-def: $vgpr142_vgpr143
                                        ; implicit-def: $vgpr24_vgpr25
                                        ; implicit-def: $vgpr34_vgpr35
                                        ; implicit-def: $vgpr38_vgpr39
                                        ; implicit-def: $vgpr134_vgpr135
                                        ; implicit-def: $vgpr30_vgpr31
                                        ; implicit-def: $vgpr20_vgpr21
	s_load_dwordx2 s[0:1], s[0:1], 0x0
	s_load_dwordx2 s[4:5], s[4:5], 0x20
	s_waitcnt lgkmcnt(0)
	v_mul_lo_u32 v3, s0, v8
	v_mul_lo_u32 v4, s1, v7
	v_mad_u64_u32 v[1:2], null, s0, v7, v[1:2]
	v_cmp_gt_u64_e32 vcc_lo, s[4:5], v[7:8]
                                        ; implicit-def: $vgpr6_vgpr7
	v_add3_u32 v2, v4, v2, v3
	v_mul_u32_u24_e32 v3, 0x5a, v5
	v_lshlrev_b64 v[1:2], 4, v[1:2]
	v_sub_nc_u32_e32 v174, v0, v3
	buffer_store_dword v1, off, s[24:27], 0 ; 4-byte Folded Spill
	buffer_store_dword v2, off, s[24:27], 0 offset:4 ; 4-byte Folded Spill
                                        ; implicit-def: $vgpr2_vgpr3
	s_and_saveexec_b32 s1, vcc_lo
	s_cbranch_execz .LBB0_11
; %bb.10:
	s_clause 0x1
	buffer_load_dword v2, off, s[24:27], 0
	buffer_load_dword v3, off, s[24:27], 0 offset:4
	v_mov_b32_e32 v175, 0
	v_lshlrev_b64 v[0:1], 4, v[174:175]
	s_waitcnt vmcnt(1)
	v_add_co_u32 v2, s0, s2, v2
	s_waitcnt vmcnt(0)
	v_add_co_ci_u32_e64 v3, s0, s3, v3, s0
	v_add_co_u32 v8, s0, v2, v0
	v_add_co_ci_u32_e64 v9, s0, v3, v1, s0
	v_add_co_u32 v4, s0, 0x3800, v8
	;; [unrolled: 2-line block ×21, first 2 shown]
	s_clause 0x3
	global_load_dwordx4 v[18:21], v[8:9], off
	global_load_dwordx4 v[0:3], v[8:9], off offset:1440
	global_load_dwordx4 v[28:31], v[4:5], off offset:64
	;; [unrolled: 1-line block ×3, first 2 shown]
	v_add_co_ci_u32_e64 v145, s0, 0, v9, s0
	s_clause 0x19
	global_load_dwordx4 v[132:135], v[10:11], off offset:128
	global_load_dwordx4 v[36:39], v[10:11], off offset:1568
	;; [unrolled: 1-line block ×26, first 2 shown]
.LBB0_11:
	s_or_b32 exec_lo, exec_lo, s1
	s_waitcnt vmcnt(25)
	v_add_f64 v[16:17], v[132:133], v[28:29]
	s_waitcnt vmcnt(24)
	v_add_f64 v[26:27], v[36:37], v[4:5]
	;; [unrolled: 2-line block ×4, first 2 shown]
	v_add_f64 v[48:49], v[4:5], v[0:1]
	v_add_f64 v[56:57], v[8:9], v[12:13]
	s_waitcnt vmcnt(15)
	v_add_f64 v[147:148], v[104:105], v[128:129]
	v_add_f64 v[44:45], v[28:29], v[18:19]
	v_add_f64 v[46:47], v[30:31], -v[134:135]
	v_add_f64 v[50:51], v[6:7], v[2:3]
	v_add_f64 v[52:53], v[38:39], v[6:7]
	v_add_f64 v[6:7], v[6:7], -v[38:39]
	v_add_f64 v[145:146], v[4:5], -v[36:37]
	v_add_f64 v[4:5], v[22:23], v[32:33]
	v_add_f64 v[54:55], v[24:25], -v[142:143]
	v_add_f64 v[58:59], v[10:11], -v[138:139]
	s_mov_b32 s4, 0xe8584caa
	s_mov_b32 s5, 0xbfebb67a
	s_waitcnt vmcnt(6)
	v_add_f64 v[155:156], v[76:77], v[96:97]
	s_waitcnt vmcnt(3)
	v_add_f64 v[159:160], v[64:65], v[84:85]
	;; [unrolled: 2-line block ×3, first 2 shown]
	v_add_f64 v[149:150], v[120:121], v[116:117]
	v_fma_f64 v[16:17], v[16:17], -0.5, v[18:19]
	v_fma_f64 v[0:1], v[26:27], -0.5, v[0:1]
	;; [unrolled: 1-line block ×4, first 2 shown]
	v_add_f64 v[26:27], v[128:129], v[124:125]
	v_add_f64 v[32:33], v[130:131], -v[106:107]
	v_add_f64 v[40:41], v[100:101], v[120:121]
	v_add_f64 v[36:37], v[36:37], v[48:49]
	;; [unrolled: 1-line block ×3, first 2 shown]
	v_fma_f64 v[56:57], v[147:148], -0.5, v[124:125]
	v_add_f64 v[151:152], v[88:89], v[108:109]
	v_add_f64 v[44:45], v[132:133], v[44:45]
	v_mad_u32_u24 v144, v174, 24, 0
	v_add_f64 v[4:5], v[140:141], v[4:5]
	s_mov_b32 s7, 0x3febb67a
	v_add_f64 v[42:43], v[122:123], -v[102:103]
	v_add_f64 v[157:158], v[108:109], v[112:113]
	v_add_nc_u32_e32 v171, 0x870, v144
	v_add_nc_u32_e32 v172, 0x10e0, v144
	v_add_nc_u32_e32 v173, 0x1950, v144
	v_add_f64 v[169:170], v[96:97], v[92:93]
	v_add_f64 v[175:176], v[86:87], -v[66:67]
	v_fma_f64 v[124:125], v[46:47], s[4:5], v[16:17]
	v_fma_f64 v[147:148], v[6:7], s[4:5], v[0:1]
	;; [unrolled: 1-line block ×4, first 2 shown]
	v_add_f64 v[177:178], v[84:85], v[80:81]
	v_add_f64 v[179:180], v[74:75], -v[62:63]
	s_mov_b32 s6, s4
	v_fma_f64 v[40:41], v[40:41], -0.5, v[116:117]
	v_add_f64 v[116:117], v[38:39], v[50:51]
	v_fma_f64 v[38:39], v[155:156], -0.5, v[92:93]
	v_fma_f64 v[92:93], v[52:53], -0.5, v[2:3]
	;; [unrolled: 1-line block ×3, first 2 shown]
	v_add_f64 v[26:27], v[104:105], v[26:27]
	v_fma_f64 v[50:51], v[161:162], -0.5, v[68:69]
	v_fma_f64 v[52:53], v[32:33], s[4:5], v[56:57]
	v_add_f64 v[153:154], v[110:111], -v[90:91]
	v_add_f64 v[163:164], v[98:99], -v[78:79]
	v_add_f64 v[181:182], v[72:73], v[68:69]
	v_fma_f64 v[112:113], v[151:152], -0.5, v[112:113]
	v_fma_f64 v[16:17], v[46:47], s[6:7], v[16:17]
	v_fma_f64 v[0:1], v[6:7], s[6:7], v[0:1]
	;; [unrolled: 1-line block ×3, first 2 shown]
	ds_write2_b64 v144, v[44:45], v[124:125] offset1:1
	ds_write2_b64 v171, v[36:37], v[147:148] offset1:1
	;; [unrolled: 1-line block ×4, first 2 shown]
	v_add_f64 v[4:5], v[100:101], v[149:150]
	v_add_nc_u32_e32 v165, 0x21c0, v144
	v_fma_f64 v[18:19], v[32:33], s[6:7], v[56:57]
	v_add_f64 v[48:49], v[76:77], v[169:170]
	v_add_f64 v[56:57], v[64:65], v[177:178]
	v_fma_f64 v[12:13], v[58:59], s[6:7], v[12:13]
	v_fma_f64 v[32:33], v[42:43], s[4:5], v[40:41]
	;; [unrolled: 1-line block ×3, first 2 shown]
	v_add_f64 v[42:43], v[88:89], v[157:158]
	v_add_nc_u32_e32 v167, 0x4388, v144
	v_fma_f64 v[54:55], v[175:176], s[4:5], v[2:3]
	v_fma_f64 v[2:3], v[175:176], s[6:7], v[2:3]
	;; [unrolled: 1-line block ×4, first 2 shown]
	v_add_nc_u32_e32 v168, 0x4bf8, v144
	v_fma_f64 v[46:47], v[163:164], s[4:5], v[38:39]
	v_fma_f64 v[38:39], v[163:164], s[6:7], v[38:39]
	;; [unrolled: 1-line block ×4, first 2 shown]
	v_add_f64 v[58:59], v[60:61], v[181:182]
	ds_write2_b64 v165, v[26:27], v[52:53] offset1:1
	ds_write_b64 v144, v[4:5] offset:10800
	ds_write_b64 v144, v[16:17] offset:16
	;; [unrolled: 1-line block ×3, first 2 shown]
	v_add_f64 v[0:1], v[142:143], v[24:25]
	v_add_f64 v[4:5], v[138:139], v[10:11]
	v_add_nc_u32_e32 v163, 0x2a38, v144
	v_add_nc_u32_e32 v164, 0x32a8, v144
	;; [unrolled: 1-line block ×3, first 2 shown]
	ds_write_b64 v144, v[6:7] offset:4336
	ds_write_b64 v144, v[12:13] offset:6496
	;; [unrolled: 1-line block ×3, first 2 shown]
	ds_write2_b64 v163, v[32:33], v[36:37] offset1:1
	ds_write_b64 v144, v[42:43] offset:12960
	ds_write2_b64 v164, v[40:41], v[44:45] offset1:1
	ds_write_b64 v144, v[48:49] offset:15120
	;; [unrolled: 2-line block ×4, first 2 shown]
	ds_write2_b64 v168, v[68:69], v[50:51] offset1:1
	v_fma_f64 v[68:69], v[0:1], -0.5, v[34:35]
	v_add_f64 v[80:81], v[24:25], v[34:35]
	v_add_f64 v[112:113], v[22:23], -v[140:141]
	v_add_f64 v[140:141], v[134:135], v[30:31]
	v_fma_f64 v[124:125], v[4:5], -0.5, v[14:15]
	v_add_f64 v[22:23], v[10:11], v[14:15]
	v_add_f64 v[136:137], v[8:9], -v[136:137]
	v_fma_f64 v[147:148], v[145:146], s[6:7], v[92:93]
	v_lshl_add_u32 v193, v174, 3, 0
	v_add_f64 v[151:152], v[30:31], v[20:21]
	v_add_f64 v[132:133], v[28:29], -v[132:133]
	v_add_f64 v[153:154], v[106:107], v[130:131]
	v_add_f64 v[155:156], v[102:103], v[122:123]
	v_add_nc_u32_e32 v192, 0x1800, v193
	v_add_nc_u32_e32 v203, 0x3c00, v193
	;; [unrolled: 1-line block ×8, first 2 shown]
	v_add_f64 v[159:160], v[78:79], v[98:99]
	v_add_f64 v[161:162], v[66:67], v[86:87]
	;; [unrolled: 1-line block ×3, first 2 shown]
	v_fma_f64 v[142:143], v[112:113], s[6:7], v[68:69]
	v_fma_f64 v[140:141], v[140:141], -0.5, v[20:21]
	s_waitcnt lgkmcnt(0)
	s_waitcnt_vscnt null, 0x0
	s_barrier
	buffer_gl0_inv
	v_add_nc_u32_e32 v196, 0x2400, v193
	v_add_nc_u32_e32 v202, 0x3000, v193
	;; [unrolled: 1-line block ×6, first 2 shown]
	ds_read2_b64 v[4:7], v193 offset1:90
	ds_read2_b64 v[0:3], v194 offset0:52 offset1:142
	ds_read2_b64 v[56:59], v197 offset0:28 offset1:118
	;; [unrolled: 1-line block ×12, first 2 shown]
	v_add_f64 v[138:139], v[138:139], v[22:23]
	v_fma_f64 v[149:150], v[136:137], s[6:7], v[124:125]
	ds_read2_b64 v[28:31], v203 offset0:60 offset1:150
	ds_read2_b64 v[20:23], v205 offset0:88 offset1:178
	s_waitcnt lgkmcnt(0)
	s_barrier
	buffer_gl0_inv
	ds_write2_b64 v171, v[116:117], v[147:148] offset1:1
	v_add_f64 v[116:117], v[62:63], v[74:75]
	v_add_f64 v[157:158], v[90:91], v[110:111]
	v_add_f64 v[86:87], v[86:87], v[82:83]
	v_add_f64 v[110:111], v[110:111], v[114:115]
	v_add_f64 v[122:123], v[122:123], v[118:119]
	v_add_f64 v[98:99], v[98:99], v[94:95]
	v_add_f64 v[74:75], v[74:75], v[70:71]
	v_add_f64 v[130:131], v[130:131], v[126:127]
	ds_write2_b64 v172, v[80:81], v[142:143] offset1:1
	ds_write2_b64 v173, v[138:139], v[149:150] offset1:1
	v_add_f64 v[80:81], v[134:135], v[151:152]
	v_fma_f64 v[134:135], v[132:133], s[6:7], v[140:141]
	v_add_f64 v[104:105], v[128:129], -v[104:105]
	v_fma_f64 v[126:127], v[153:154], -0.5, v[126:127]
	v_add_f64 v[100:101], v[120:121], -v[100:101]
	v_fma_f64 v[118:119], v[155:156], -0.5, v[118:119]
	;; [unrolled: 2-line block ×5, first 2 shown]
	v_fma_f64 v[114:115], v[157:158], -0.5, v[114:115]
	v_add_f64 v[88:89], v[108:109], -v[88:89]
	v_add_f64 v[66:67], v[66:67], v[86:87]
	v_fma_f64 v[86:87], v[132:133], s[4:5], v[140:141]
	v_add_f64 v[72:73], v[90:91], v[110:111]
	v_fma_f64 v[90:91], v[145:146], s[4:5], v[92:93]
	v_fma_f64 v[68:69], v[112:113], s[4:5], v[68:69]
	v_add_nc_u32_e32 v206, 0x5a, v174
	v_and_b32_e32 v179, 0xff, v174
	v_add_f64 v[96:97], v[102:103], v[122:123]
	v_add_f64 v[78:79], v[78:79], v[98:99]
	v_add_f64 v[62:63], v[62:63], v[74:75]
	v_and_b32_e32 v178, 0xff, v206
	v_fma_f64 v[74:75], v[136:137], s[4:5], v[124:125]
	v_add_f64 v[84:85], v[106:107], v[130:131]
	ds_write2_b64 v144, v[80:81], v[134:135] offset1:1
	v_fma_f64 v[80:81], v[104:105], s[6:7], v[126:127]
	v_fma_f64 v[92:93], v[104:105], s[4:5], v[126:127]
	;; [unrolled: 1-line block ×10, first 2 shown]
	v_mul_lo_u16 v70, 0xab, v179
	v_fma_f64 v[102:103], v[88:89], s[6:7], v[114:115]
	v_fma_f64 v[88:89], v[88:89], s[4:5], v[114:115]
	ds_write_b64 v144, v[86:87] offset:16
	ds_write_b64 v144, v[90:91] offset:2176
	;; [unrolled: 1-line block ×3, first 2 shown]
	v_mul_lo_u16 v68, 0xab, v178
	v_lshrrev_b16 v176, 9, v70
	v_mov_b32_e32 v177, 9
	ds_write_b64 v144, v[74:75] offset:6496
	ds_write2_b64 v165, v[84:85], v[80:81] offset1:1
	ds_write_b64 v144, v[92:93] offset:8656
	v_lshrrev_b16 v175, 9, v68
	v_mul_lo_u16 v69, v176, 3
	ds_write_b64 v144, v[96:97] offset:10800
	ds_write2_b64 v163, v[98:99], v[100:101] offset1:1
	ds_write_b64 v144, v[72:73] offset:12960
	ds_write2_b64 v164, v[102:103], v[88:89] offset1:1
	v_mul_lo_u16 v68, v175, 3
	v_sub_nc_u16 v182, v174, v69
	ds_write_b64 v144, v[78:79] offset:15120
	ds_write2_b64 v166, v[104:105], v[76:77] offset1:1
	ds_write_b64 v144, v[66:67] offset:17280
	ds_write2_b64 v167, v[94:95], v[64:65] offset1:1
	ds_write_b64 v144, v[62:63] offset:19440
	v_sub_nc_u16 v183, v206, v68
	v_mul_u32_u24_sdwa v66, v182, v177 dst_sel:DWORD dst_unused:UNUSED_PAD src0_sel:BYTE_0 src1_sel:DWORD
	ds_write2_b64 v168, v[82:83], v[60:61] offset1:1
	s_waitcnt lgkmcnt(0)
	s_barrier
	v_mul_u32_u24_sdwa v62, v183, v177 dst_sel:DWORD dst_unused:UNUSED_PAD src0_sel:BYTE_0 src1_sel:DWORD
	v_lshlrev_b32_e32 v148, 4, v66
	buffer_gl0_inv
	v_add_nc_u32_e32 v207, 0xb4, v174
	v_mov_b32_e32 v76, 0xaaab
	v_lshlrev_b32_e32 v156, 4, v62
	s_clause 0x5
	global_load_dwordx4 v[64:67], v148, s[8:9] offset:16
	global_load_dwordx4 v[72:75], v156, s[8:9] offset:16
	;; [unrolled: 1-line block ×6, first 2 shown]
	v_mul_u32_u24_sdwa v76, v207, v76 dst_sel:DWORD dst_unused:UNUSED_PAD src0_sel:WORD_0 src1_sel:DWORD
	s_clause 0x1
	global_load_dwordx4 v[92:95], v156, s[8:9] offset:80
	global_load_dwordx4 v[80:83], v156, s[8:9] offset:112
	v_mov_b32_e32 v172, 0xf0
	v_mov_b32_e32 v208, 3
	v_lshrrev_b32_e32 v180, 17, v76
	s_mov_b32 s14, 0x134454ff
	s_mov_b32 s15, 0xbfee6f0e
	v_mul_u32_u24_sdwa v173, v176, v172 dst_sel:DWORD dst_unused:UNUSED_PAD src0_sel:WORD_0 src1_sel:DWORD
	v_mul_u32_u24_sdwa v172, v175, v172 dst_sel:DWORD dst_unused:UNUSED_PAD src0_sel:WORD_0 src1_sel:DWORD
	v_mul_lo_u16 v76, v180, 3
	v_lshlrev_b32_sdwa v175, v208, v182 dst_sel:DWORD dst_unused:UNUSED_PAD src0_sel:DWORD src1_sel:BYTE_0
	v_lshlrev_b32_sdwa v176, v208, v183 dst_sel:DWORD dst_unused:UNUSED_PAD src0_sel:DWORD src1_sel:BYTE_0
	s_mov_b32 s1, 0x3fee6f0e
	s_mov_b32 s0, s14
	v_sub_nc_u16 v181, v207, v76
	v_add3_u32 v183, 0, v173, v175
	v_add3_u32 v182, 0, v172, v176
	s_mov_b32 s12, 0x4755a5e
	s_mov_b32 s13, 0xbfe2cf23
	v_mul_u32_u24_sdwa v76, v181, v177 dst_sel:DWORD dst_unused:UNUSED_PAD src0_sel:WORD_0 src1_sel:DWORD
	s_mov_b32 s11, 0x3fe2cf23
	s_mov_b32 s10, s12
	s_mov_b32 s16, 0x372fe950
	s_mov_b32 s17, 0x3fd3c6ef
	v_lshlrev_b32_e32 v164, 4, v76
	s_clause 0x12
	global_load_dwordx4 v[76:79], v156, s[8:9]
	global_load_dwordx4 v[96:99], v164, s[8:9]
	global_load_dwordx4 v[84:87], v148, s[8:9] offset:32
	global_load_dwordx4 v[116:119], v164, s[8:9] offset:16
	;; [unrolled: 1-line block ×13, first 2 shown]
	global_load_dwordx4 v[148:151], v148, s[8:9]
	global_load_dwordx4 v[152:155], v164, s[8:9] offset:112
	global_load_dwordx4 v[156:159], v156, s[8:9] offset:128
	;; [unrolled: 1-line block ×3, first 2 shown]
	ds_read2_b64 v[168:171], v197 offset0:28 offset1:118
	ds_read2_b64 v[184:187], v195 offset0:56 offset1:146
	;; [unrolled: 1-line block ×9, first 2 shown]
	s_mov_b32 s22, 0x9b97f4a8
	s_mov_b32 s23, 0x3fe9e377
	;; [unrolled: 1-line block ×6, first 2 shown]
	s_waitcnt vmcnt(26) lgkmcnt(8)
	v_mul_f64 v[188:189], v[168:169], v[66:67]
	v_mul_f64 v[66:67], v[56:57], v[66:67]
	s_waitcnt vmcnt(25)
	v_mul_f64 v[237:238], v[170:171], v[74:75]
	v_mul_f64 v[74:75], v[58:59], v[74:75]
	s_waitcnt vmcnt(24) lgkmcnt(7)
	v_mul_f64 v[249:250], v[184:185], v[70:71]
	v_mul_f64 v[251:252], v[52:53], v[70:71]
	s_waitcnt vmcnt(23)
	v_mul_f64 v[253:254], v[186:187], v[62:63]
	s_waitcnt vmcnt(22) lgkmcnt(6)
	v_mul_f64 v[172:173], v[209:210], v[106:107]
	v_mul_f64 v[106:107], v[48:49], v[106:107]
	;; [unrolled: 1-line block ×3, first 2 shown]
	s_waitcnt vmcnt(20)
	v_mul_f64 v[190:191], v[211:212], v[94:95]
	v_fma_f64 v[175:176], v[56:57], v[64:65], v[188:189]
	v_fma_f64 v[70:71], v[168:169], v[64:65], -v[66:67]
	v_mul_f64 v[64:65], v[50:51], v[94:95]
	v_fma_f64 v[66:67], v[170:171], v[72:73], -v[74:75]
	v_fma_f64 v[168:169], v[52:53], v[68:69], v[249:250]
	v_fma_f64 v[52:53], v[184:185], v[68:69], -v[251:252]
	s_waitcnt lgkmcnt(5)
	v_mul_f64 v[68:69], v[213:214], v[90:91]
	v_mul_f64 v[170:171], v[44:45], v[90:91]
	v_fma_f64 v[90:91], v[54:55], v[60:61], v[253:254]
	s_waitcnt vmcnt(19)
	v_mul_f64 v[188:189], v[215:216], v[82:83]
	v_mul_f64 v[249:250], v[46:47], v[82:83]
	v_fma_f64 v[54:55], v[48:49], v[104:105], v[172:173]
	v_fma_f64 v[48:49], v[209:210], v[104:105], -v[106:107]
	s_waitcnt vmcnt(18) lgkmcnt(4)
	v_mul_f64 v[104:105], v[217:218], v[78:79]
	v_mul_f64 v[78:79], v[40:41], v[78:79]
	s_waitcnt vmcnt(17)
	v_mul_f64 v[106:107], v[219:220], v[98:99]
	v_mul_f64 v[98:99], v[42:43], v[98:99]
	v_fma_f64 v[94:95], v[58:59], v[72:73], v[237:238]
	v_fma_f64 v[82:83], v[50:51], v[92:93], v[190:191]
	s_waitcnt vmcnt(16) lgkmcnt(3)
	v_mul_f64 v[172:173], v[223:224], v[86:87]
	v_mul_f64 v[86:87], v[38:39], v[86:87]
	s_waitcnt vmcnt(12)
	v_mul_f64 v[190:191], v[18:19], v[102:103]
	ds_read2_b64 v[237:240], v255 offset0:8 offset1:98
	ds_read2_b64 v[241:244], v203 offset0:60 offset1:150
	;; [unrolled: 1-line block ×3, first 2 shown]
	v_fma_f64 v[72:73], v[211:212], v[92:93], -v[64:65]
	v_fma_f64 v[74:75], v[186:187], v[60:61], -v[62:63]
	ds_read2_b64 v[56:59], v194 offset0:52 offset1:142
	ds_read2_b64 v[184:187], v205 offset0:88 offset1:178
	ds_read2_b64 v[60:63], v193 offset1:90
	v_fma_f64 v[50:51], v[44:45], v[88:89], v[68:69]
	v_mul_f64 v[68:69], v[221:222], v[118:119]
	v_mul_f64 v[118:119], v[36:37], v[118:119]
	v_fma_f64 v[92:93], v[46:47], v[80:81], v[188:189]
	v_fma_f64 v[64:65], v[215:216], v[80:81], -v[249:250]
	s_waitcnt lgkmcnt(8)
	v_mul_f64 v[80:81], v[227:228], v[114:115]
	v_fma_f64 v[44:45], v[213:214], v[88:89], -v[170:171]
	v_fma_f64 v[209:210], v[40:41], v[76:77], v[104:105]
	v_fma_f64 v[104:105], v[217:218], v[76:77], -v[78:79]
	s_waitcnt vmcnt(11) lgkmcnt(7)
	v_mul_f64 v[76:77], v[229:230], v[122:123]
	v_mul_f64 v[78:79], v[16:17], v[122:123]
	v_fma_f64 v[40:41], v[42:43], v[96:97], v[106:107]
	s_waitcnt vmcnt(10) lgkmcnt(6)
	v_mul_f64 v[42:43], v[233:234], v[126:127]
	v_mul_f64 v[122:123], v[24:25], v[126:127]
	s_waitcnt vmcnt(8)
	v_mul_f64 v[126:127], v[14:15], v[134:135]
	v_mul_f64 v[46:47], v[225:226], v[110:111]
	v_fma_f64 v[88:89], v[219:220], v[96:97], -v[98:99]
	v_mul_f64 v[96:97], v[235:236], v[130:131]
	v_mul_f64 v[98:99], v[26:27], v[130:131]
	s_waitcnt vmcnt(7)
	v_mul_f64 v[130:131], v[10:11], v[162:163]
	v_mul_f64 v[110:111], v[32:33], v[110:111]
	;; [unrolled: 1-line block ×4, first 2 shown]
	v_fma_f64 v[172:173], v[38:39], v[84:85], v[172:173]
	v_fma_f64 v[38:39], v[223:224], v[84:85], -v[86:87]
	s_waitcnt lgkmcnt(5)
	v_mul_f64 v[86:87], v[239:240], v[134:135]
	s_waitcnt vmcnt(6)
	v_mul_f64 v[134:135], v[237:238], v[146:147]
	v_fma_f64 v[102:103], v[36:37], v[116:117], v[68:69]
	v_fma_f64 v[84:85], v[221:222], v[116:117], -v[118:119]
	s_waitcnt lgkmcnt(3)
	v_mul_f64 v[116:117], v[247:248], v[162:163]
	s_waitcnt vmcnt(3) lgkmcnt(2)
	v_mul_f64 v[162:163], v[58:59], v[150:151]
	v_fma_f64 v[213:214], v[34:35], v[112:113], v[80:81]
	v_mul_f64 v[150:151], v[2:3], v[150:151]
	v_fma_f64 v[36:37], v[231:232], v[100:101], -v[190:191]
	v_mul_f64 v[68:69], v[12:13], v[146:147]
	v_mul_f64 v[146:147], v[241:242], v[142:143]
	v_fma_f64 v[34:35], v[239:240], v[132:133], -v[126:127]
	v_mul_f64 v[118:119], v[28:29], v[142:143]
	v_mul_f64 v[142:143], v[243:244], v[138:139]
	v_fma_f64 v[46:47], v[32:33], v[108:109], v[46:47]
	s_waitcnt vmcnt(2)
	v_mul_f64 v[211:212], v[245:246], v[154:155]
	v_fma_f64 v[32:33], v[247:248], v[160:161], -v[130:131]
	v_fma_f64 v[114:115], v[225:226], v[108:109], -v[110:111]
	s_waitcnt vmcnt(1) lgkmcnt(1)
	v_mul_f64 v[215:216], v[184:185], v[158:159]
	v_fma_f64 v[106:107], v[227:228], v[112:113], -v[170:171]
	v_fma_f64 v[18:19], v[18:19], v[100:101], v[188:189]
	v_fma_f64 v[108:109], v[16:17], v[120:121], v[76:77]
	;; [unrolled: 1-line block ×5, first 2 shown]
	v_mul_f64 v[138:139], v[30:31], v[138:139]
	v_fma_f64 v[16:17], v[10:11], v[160:161], v[116:117]
	v_mul_f64 v[154:155], v[8:9], v[154:155]
	v_mul_f64 v[126:127], v[20:21], v[158:159]
	v_fma_f64 v[10:11], v[58:59], v[148:149], -v[150:151]
	s_waitcnt vmcnt(0)
	v_mul_f64 v[130:131], v[186:187], v[166:167]
	v_fma_f64 v[100:101], v[229:230], v[120:121], -v[78:79]
	v_fma_f64 v[26:27], v[26:27], v[128:129], v[96:97]
	v_add_f64 v[12:13], v[36:37], v[34:35]
	v_fma_f64 v[120:121], v[2:3], v[148:149], v[162:163]
	v_fma_f64 v[14:15], v[30:31], v[136:137], v[142:143]
	v_fma_f64 v[98:99], v[235:236], v[128:129], -v[98:99]
	v_fma_f64 v[116:117], v[8:9], v[152:153], v[211:212]
	v_add_f64 v[30:31], v[38:39], v[32:33]
	v_fma_f64 v[110:111], v[233:234], v[124:125], -v[122:123]
	v_fma_f64 v[8:9], v[20:21], v[156:157], v[215:216]
	v_fma_f64 v[96:97], v[241:242], v[140:141], -v[118:119]
	v_mul_f64 v[158:159], v[22:23], v[166:167]
	v_fma_f64 v[28:29], v[28:29], v[140:141], v[146:147]
	v_add_f64 v[132:133], v[36:37], -v[34:35]
	v_add_f64 v[128:129], v[18:19], v[42:43]
	v_add_f64 v[150:151], v[38:39], -v[32:33]
	v_fma_f64 v[86:87], v[243:244], v[136:137], -v[138:139]
	v_add_f64 v[20:21], v[172:173], v[16:17]
	v_add_f64 v[134:135], v[172:173], -v[16:17]
	v_add_f64 v[136:137], v[18:19], -v[42:43]
	v_fma_f64 v[58:59], v[245:246], v[152:153], -v[154:155]
	v_fma_f64 v[78:79], v[184:185], v[156:157], -v[126:127]
	v_fma_f64 v[2:3], v[22:23], v[164:165], v[130:131]
	v_add_f64 v[126:127], v[38:39], -v[36:37]
	v_fma_f64 v[12:13], v[12:13], -0.5, v[10:11]
	v_add_f64 v[124:125], v[120:121], v[172:173]
	v_add_f64 v[130:131], v[32:33], -v[34:35]
	v_add_f64 v[152:153], v[168:169], v[54:55]
	v_add_f64 v[154:155], v[175:176], v[50:51]
	v_fma_f64 v[30:31], v[30:31], -0.5, v[10:11]
	v_add_f64 v[146:147], v[36:37], -v[38:39]
	v_add_f64 v[148:149], v[34:35], -v[32:33]
	v_add_f64 v[184:185], v[110:111], v[96:97]
	v_fma_f64 v[76:77], v[186:187], v[164:165], -v[158:159]
	v_add_f64 v[118:119], v[172:173], -v[18:19]
	v_add_f64 v[122:123], v[16:17], -v[42:43]
	v_fma_f64 v[128:129], v[128:129], -0.5, v[120:121]
	v_add_f64 v[138:139], v[18:19], -v[172:173]
	v_add_f64 v[140:141], v[42:43], -v[16:17]
	v_fma_f64 v[20:21], v[20:21], -0.5, v[120:121]
	v_add_f64 v[156:157], v[4:5], v[175:176]
	v_add_f64 v[158:159], v[70:71], -v[44:45]
	v_add_f64 v[160:161], v[52:53], -v[48:49]
	v_add_f64 v[221:222], v[24:25], v[28:29]
	v_fma_f64 v[80:81], v[237:238], v[144:145], -v[68:69]
	v_add_f64 v[22:23], v[175:176], -v[168:169]
	v_fma_f64 v[120:121], v[134:135], s[0:1], v[12:13]
	v_fma_f64 v[12:13], v[134:135], s[14:15], v[12:13]
	v_add_f64 v[126:127], v[126:127], v[130:131]
	v_fma_f64 v[130:131], v[152:153], -0.5, v[4:5]
	v_fma_f64 v[4:5], v[154:155], -0.5, v[4:5]
	v_fma_f64 v[190:191], v[136:137], s[14:15], v[30:31]
	v_fma_f64 v[30:31], v[136:137], s[0:1], v[30:31]
	v_add_f64 v[146:147], v[146:147], v[148:149]
	v_fma_f64 v[148:149], v[184:185], -0.5, v[104:105]
	v_add_f64 v[68:69], v[50:51], -v[54:55]
	v_add_f64 v[142:143], v[168:169], -v[175:176]
	;; [unrolled: 1-line block ×3, first 2 shown]
	v_fma_f64 v[152:153], v[150:151], s[14:15], v[128:129]
	v_add_f64 v[162:163], v[90:91], v[82:83]
	v_add_f64 v[211:212], v[209:210], v[46:47]
	v_fma_f64 v[154:155], v[132:133], s[0:1], v[20:21]
	v_fma_f64 v[20:21], v[132:133], s[14:15], v[20:21]
	v_add_f64 v[225:226], v[46:47], -v[8:9]
	v_add_f64 v[229:230], v[114:115], -v[78:79]
	v_add_f64 v[237:238], v[118:119], v[122:123]
	v_add_f64 v[18:19], v[124:125], v[18:19]
	;; [unrolled: 1-line block ×3, first 2 shown]
	v_fma_f64 v[120:121], v[136:137], s[10:11], v[120:121]
	v_add_f64 v[122:123], v[156:157], v[168:169]
	v_fma_f64 v[138:139], v[221:222], -0.5, v[209:210]
	v_fma_f64 v[124:125], v[150:151], s[0:1], v[128:129]
	v_fma_f64 v[128:129], v[158:159], s[14:15], v[130:131]
	;; [unrolled: 1-line block ×7, first 2 shown]
	v_add_f64 v[164:165], v[94:95], v[92:93]
	v_add_f64 v[166:167], v[6:7], v[94:95]
	v_fma_f64 v[152:153], v[132:133], s[12:13], v[152:153]
	v_add_f64 v[186:187], v[46:47], -v[24:25]
	v_add_f64 v[188:189], v[8:9], -v[28:29]
	v_fma_f64 v[154:155], v[150:151], s[12:13], v[154:155]
	v_fma_f64 v[20:21], v[150:151], s[10:11], v[20:21]
	v_add_f64 v[227:228], v[24:25], -v[28:29]
	v_add_f64 v[231:232], v[110:111], -v[96:97]
	;; [unrolled: 1-line block ×3, first 2 shown]
	v_add_f64 v[46:47], v[46:47], v[8:9]
	v_add_f64 v[235:236], v[114:115], v[78:79]
	v_fma_f64 v[150:151], v[126:127], s[16:17], v[120:121]
	v_fma_f64 v[156:157], v[225:226], s[0:1], v[148:149]
	v_add_f64 v[22:23], v[22:23], v[68:69]
	v_fma_f64 v[68:69], v[162:163], -0.5, v[6:7]
	v_add_f64 v[24:25], v[211:212], v[24:25]
	v_fma_f64 v[12:13], v[146:147], s[16:17], v[184:185]
	v_fma_f64 v[120:121], v[146:147], s[16:17], v[30:31]
	v_add_f64 v[30:31], v[142:143], v[144:145]
	v_add_f64 v[18:19], v[18:19], v[42:43]
	v_fma_f64 v[42:43], v[158:159], s[0:1], v[130:131]
	v_add_f64 v[130:131], v[122:123], v[54:55]
	v_fma_f64 v[146:147], v[229:230], s[14:15], v[138:139]
	v_fma_f64 v[132:133], v[132:133], s[10:11], v[124:125]
	;; [unrolled: 1-line block ×9, first 2 shown]
	v_add_f64 v[215:216], v[66:67], -v[64:65]
	v_add_f64 v[170:171], v[94:95], -v[90:91]
	v_mul_f64 v[20:21], v[150:151], s[12:13]
	v_add_f64 v[172:173], v[92:93], -v[82:83]
	v_add_f64 v[217:218], v[114:115], -v[110:111]
	;; [unrolled: 1-line block ×4, first 2 shown]
	v_mul_f64 v[126:127], v[12:13], s[14:15]
	v_mul_f64 v[136:137], v[120:121], s[14:15]
	v_add_f64 v[190:191], v[28:29], -v[8:9]
	v_add_f64 v[233:234], v[90:91], -v[94:95]
	v_add_f64 v[142:143], v[166:167], v[90:91]
	v_fma_f64 v[128:129], v[227:228], s[10:11], v[156:157]
	v_add_f64 v[152:153], v[82:83], -v[92:93]
	v_add_f64 v[154:155], v[110:111], -v[114:115]
	;; [unrolled: 1-line block ×3, first 2 shown]
	v_add_f64 v[166:167], v[106:107], v[76:77]
	v_add_f64 v[184:185], v[186:187], v[188:189]
	v_fma_f64 v[186:187], v[235:236], -0.5, v[104:105]
	v_add_f64 v[24:25], v[24:25], v[28:29]
	v_fma_f64 v[28:29], v[160:161], s[10:11], v[42:43]
	v_add_f64 v[16:17], v[18:19], v[16:17]
	v_add_f64 v[18:19], v[130:131], v[50:51]
	v_fma_f64 v[42:43], v[231:232], s[12:13], v[146:147]
	v_fma_f64 v[130:131], v[237:238], s[16:17], v[132:133]
	;; [unrolled: 1-line block ×3, first 2 shown]
	v_mul_f64 v[140:141], v[122:123], s[12:13]
	v_fma_f64 v[146:147], v[22:23], s[16:17], v[162:163]
	v_fma_f64 v[20:21], v[4:5], s[22:23], v[20:21]
	v_fma_f64 v[46:47], v[46:47], -0.5, v[209:210]
	v_add_f64 v[162:163], v[98:99], v[86:87]
	v_fma_f64 v[6:7], v[164:165], -0.5, v[6:7]
	v_fma_f64 v[188:189], v[215:216], s[14:15], v[68:69]
	v_fma_f64 v[30:31], v[30:31], s[16:17], v[158:159]
	;; [unrolled: 1-line block ×4, first 2 shown]
	v_add_f64 v[144:145], v[217:218], v[219:220]
	v_add_f64 v[160:161], v[26:27], v[14:15]
	v_add_f64 v[209:210], v[213:214], -v[2:3]
	v_add_f64 v[217:218], v[213:214], v[2:3]
	v_add_f64 v[164:165], v[170:171], v[172:173]
	v_fma_f64 v[170:171], v[227:228], s[14:15], v[186:187]
	v_fma_f64 v[172:173], v[227:228], s[0:1], v[186:187]
	;; [unrolled: 1-line block ×3, first 2 shown]
	v_add_f64 v[134:135], v[134:135], v[190:191]
	v_fma_f64 v[126:127], v[184:185], s[16:17], v[42:43]
	v_add_f64 v[42:43], v[233:234], v[152:153]
	v_fma_f64 v[148:149], v[225:226], s[14:15], v[148:149]
	v_fma_f64 v[28:29], v[130:131], s[18:19], v[140:141]
	v_add_f64 v[140:141], v[18:19], v[16:17]
	v_add_f64 v[152:153], v[146:147], v[20:21]
	v_fma_f64 v[190:191], v[231:232], s[0:1], v[46:47]
	v_add_f64 v[154:155], v[154:155], v[156:157]
	v_fma_f64 v[156:157], v[166:167], -0.5, v[88:89]
	v_fma_f64 v[166:167], v[223:224], s[0:1], v[6:7]
	v_fma_f64 v[162:163], v[162:163], -0.5, v[88:89]
	v_add_f64 v[211:212], v[26:27], -v[14:15]
	v_fma_f64 v[186:187], v[223:224], s[12:13], v[188:189]
	v_add_f64 v[188:189], v[132:133], v[158:159]
	v_add_f64 v[219:220], v[30:31], v[136:137]
	v_fma_f64 v[6:7], v[223:224], s[14:15], v[6:7]
	s_waitcnt lgkmcnt(0)
	s_barrier
	buffer_gl0_inv
	v_fma_f64 v[46:47], v[231:232], s[14:15], v[46:47]
	v_fma_f64 v[170:171], v[225:226], s[10:11], v[170:171]
	;; [unrolled: 1-line block ×3, first 2 shown]
	v_add_f64 v[20:21], v[146:147], -v[20:21]
	v_add_f64 v[132:133], v[132:133], -v[158:159]
	v_add_f64 v[30:31], v[30:31], -v[136:137]
	v_add_f64 v[146:147], v[22:23], v[28:29]
	v_add_f64 v[22:23], v[22:23], -v[28:29]
	ds_write2_b64 v183, v[140:141], v[152:153] offset1:3
	ds_write2_b64 v183, v[188:189], v[219:220] offset0:6 offset1:9
	v_fma_f64 v[28:29], v[229:230], s[0:1], v[138:139]
	v_fma_f64 v[136:137], v[229:230], s[12:13], v[190:191]
	;; [unrolled: 1-line block ×3, first 2 shown]
	v_add_f64 v[140:141], v[108:109], v[112:113]
	v_add_f64 v[148:149], v[102:103], v[116:117]
	v_fma_f64 v[152:153], v[215:216], s[12:13], v[166:167]
	v_add_f64 v[158:159], v[106:107], -v[98:99]
	v_add_f64 v[166:167], v[76:77], -v[86:87]
	v_fma_f64 v[160:161], v[160:161], -0.5, v[40:41]
	v_fma_f64 v[188:189], v[217:218], -0.5, v[40:41]
	v_add_f64 v[190:191], v[98:99], -v[106:107]
	v_add_f64 v[217:218], v[86:87], -v[76:77]
	;; [unrolled: 1-line block ×3, first 2 shown]
	v_fma_f64 v[221:222], v[209:210], s[0:1], v[162:163]
	v_add_f64 v[40:41], v[40:41], v[213:214]
	v_fma_f64 v[162:163], v[209:210], s[14:15], v[162:163]
	v_fma_f64 v[6:7], v[215:216], s[10:11], v[6:7]
	v_add_f64 v[225:226], v[98:99], -v[86:87]
	v_fma_f64 v[68:69], v[215:216], s[0:1], v[68:69]
	v_fma_f64 v[215:216], v[211:212], s[14:15], v[156:157]
	;; [unrolled: 1-line block ×7, first 2 shown]
	v_add_f64 v[172:173], v[213:214], -v[26:27]
	v_add_f64 v[227:228], v[2:3], -v[14:15]
	v_fma_f64 v[140:141], v[140:141], -0.5, v[0:1]
	v_fma_f64 v[148:149], v[148:149], -0.5, v[0:1]
	v_add_f64 v[0:1], v[0:1], v[102:103]
	v_add_f64 v[213:214], v[26:27], -v[213:214]
	v_add_f64 v[229:230], v[14:15], -v[2:3]
	;; [unrolled: 1-line block ×3, first 2 shown]
	v_add_f64 v[158:159], v[158:159], v[166:167]
	v_add_f64 v[166:167], v[84:85], -v[58:59]
	v_add_f64 v[190:191], v[190:191], v[217:218]
	v_fma_f64 v[217:218], v[219:220], s[14:15], v[160:161]
	v_fma_f64 v[221:222], v[211:212], s[10:11], v[221:222]
	v_add_f64 v[26:27], v[40:41], v[26:27]
	v_fma_f64 v[160:161], v[219:220], s[0:1], v[160:161]
	v_fma_f64 v[162:163], v[211:212], s[12:13], v[162:163]
	;; [unrolled: 1-line block ×10, first 2 shown]
	v_add_f64 v[40:41], v[102:103], -v[108:109]
	v_add_f64 v[46:47], v[116:117], -v[112:113]
	v_add_f64 v[144:145], v[172:173], v[227:228]
	v_add_f64 v[172:173], v[108:109], -v[102:103]
	v_add_f64 v[209:210], v[112:113], -v[116:117]
	v_add_f64 v[211:212], v[213:214], v[229:230]
	v_fma_f64 v[213:214], v[231:232], s[0:1], v[148:149]
	v_fma_f64 v[148:149], v[231:232], s[14:15], v[148:149]
	v_fma_f64 v[227:228], v[166:167], s[14:15], v[140:141]
	v_add_f64 v[0:1], v[0:1], v[108:109]
	v_fma_f64 v[217:218], v[225:226], s[12:13], v[217:218]
	v_fma_f64 v[221:222], v[158:159], s[16:17], v[221:222]
	;; [unrolled: 1-line block ×3, first 2 shown]
	v_add_f64 v[223:224], v[52:53], v[48:49]
	v_add_f64 v[14:15], v[26:27], v[14:15]
	v_fma_f64 v[26:27], v[166:167], s[0:1], v[140:141]
	v_fma_f64 v[140:141], v[225:226], s[10:11], v[160:161]
	;; [unrolled: 1-line block ×7, first 2 shown]
	v_add_f64 v[142:143], v[142:143], v[82:83]
	v_add_f64 v[8:9], v[24:25], v[8:9]
	v_mul_f64 v[24:25], v[128:129], s[12:13]
	v_mul_f64 v[190:191], v[170:171], s[14:15]
	;; [unrolled: 1-line block ×3, first 2 shown]
	v_fma_f64 v[184:185], v[184:185], s[16:17], v[28:29]
	v_mul_f64 v[28:29], v[138:139], s[12:13]
	v_add_f64 v[40:41], v[40:41], v[46:47]
	v_add_f64 v[46:47], v[172:173], v[209:210]
	v_fma_f64 v[160:161], v[166:167], s[12:13], v[213:214]
	v_fma_f64 v[148:149], v[166:167], s[10:11], v[148:149]
	;; [unrolled: 1-line block ×3, first 2 shown]
	v_add_f64 v[0:1], v[0:1], v[112:113]
	v_fma_f64 v[166:167], v[144:145], s[16:17], v[217:218]
	v_mul_f64 v[172:173], v[221:222], s[12:13]
	v_add_f64 v[10:11], v[10:11], v[38:39]
	v_fma_f64 v[152:153], v[42:43], s[16:17], v[152:153]
	v_add_f64 v[175:176], v[175:176], -v[50:51]
	v_add_f64 v[50:51], v[60:61], v[70:71]
	v_fma_f64 v[217:218], v[223:224], -0.5, v[60:61]
	v_fma_f64 v[6:7], v[42:43], s[16:17], v[6:7]
	v_fma_f64 v[26:27], v[231:232], s[10:11], v[26:27]
	;; [unrolled: 1-line block ×3, first 2 shown]
	v_mul_f64 v[42:43], v[158:159], s[12:13]
	v_fma_f64 v[209:210], v[211:212], s[16:17], v[229:230]
	v_fma_f64 v[188:189], v[211:212], s[16:17], v[188:189]
	v_mul_f64 v[211:212], v[215:216], s[14:15]
	v_mul_f64 v[213:214], v[156:157], s[14:15]
	v_add_f64 v[142:143], v[142:143], v[92:93]
	v_add_f64 v[16:17], v[18:19], -v[16:17]
	v_fma_f64 v[18:19], v[164:165], s[16:17], v[186:187]
	v_fma_f64 v[24:25], v[126:127], s[22:23], v[24:25]
	;; [unrolled: 1-line block ×6, first 2 shown]
	v_add_f64 v[2:3], v[14:15], v[2:3]
	v_fma_f64 v[14:15], v[46:47], s[16:17], v[160:161]
	v_fma_f64 v[46:47], v[46:47], s[16:17], v[148:149]
	v_add_f64 v[0:1], v[0:1], v[116:117]
	v_fma_f64 v[148:149], v[40:41], s[16:17], v[162:163]
	v_fma_f64 v[160:161], v[166:167], s[22:23], v[172:173]
	v_add_f64 v[10:11], v[10:11], v[36:37]
	v_add_f64 v[36:37], v[70:71], -v[52:53]
	v_add_f64 v[172:173], v[44:45], -v[48:49]
	;; [unrolled: 1-line block ×3, first 2 shown]
	v_add_f64 v[50:51], v[50:51], v[52:53]
	v_fma_f64 v[54:55], v[175:176], s[0:1], v[217:218]
	v_fma_f64 v[26:27], v[40:41], s[16:17], v[26:27]
	v_add_f64 v[40:41], v[70:71], v[44:45]
	v_fma_f64 v[42:43], v[140:141], s[18:19], v[42:43]
	v_fma_f64 v[162:163], v[209:210], s[16:17], v[211:212]
	;; [unrolled: 1-line block ×3, first 2 shown]
	v_add_f64 v[186:187], v[142:143], v[8:9]
	v_add_f64 v[38:39], v[18:19], v[24:25]
	v_add_f64 v[8:9], v[142:143], -v[8:9]
	v_add_f64 v[142:143], v[152:153], v[144:145]
	v_add_f64 v[18:19], v[18:19], -v[24:25]
	;; [unrolled: 2-line block ×5, first 2 shown]
	v_add_f64 v[10:11], v[10:11], v[34:35]
	v_mul_f64 v[34:35], v[150:151], s[22:23]
	v_add_f64 v[172:173], v[36:37], v[172:173]
	v_add_f64 v[2:3], v[148:149], v[160:161]
	;; [unrolled: 1-line block ×3, first 2 shown]
	v_fma_f64 v[50:51], v[168:169], s[10:11], v[54:55]
	v_add_f64 v[148:149], v[148:149], -v[160:161]
	v_fma_f64 v[40:41], v[40:41], -0.5, v[60:61]
	v_add_f64 v[54:55], v[26:27], v[42:43]
	v_add_f64 v[160:161], v[14:15], v[162:163]
	v_add_f64 v[14:15], v[14:15], -v[162:163]
	v_add_f64 v[6:7], v[6:7], -v[190:191]
	v_add_f64 v[190:191], v[46:47], v[164:165]
	v_add_f64 v[46:47], v[46:47], -v[164:165]
	v_add_f64 v[26:27], v[26:27], -v[42:43]
	v_mul_u32_u24_e32 v42, 0xf0, v180
	v_lshlrev_b32_sdwa v43, v208, v181 dst_sel:DWORD dst_unused:UNUSED_PAD src0_sel:DWORD src1_sel:WORD_0
	ds_write2_b64 v183, v[146:147], v[16:17] offset0:12 offset1:15
	ds_write2_b64 v183, v[20:21], v[132:133] offset0:18 offset1:21
	;; [unrolled: 1-line block ×3, first 2 shown]
	ds_write2_b64 v182, v[186:187], v[38:39] offset1:3
	v_add_f64 v[146:147], v[74:75], v[72:73]
	v_add_f64 v[150:151], v[66:67], v[64:65]
	v_add_f64 v[164:165], v[100:101], v[80:81]
	v_add3_u32 v211, 0, v42, v43
	ds_write2_b64 v182, v[142:143], v[24:25] offset0:6 offset1:9
	ds_write2_b64 v182, v[152:153], v[8:9] offset0:12 offset1:15
	;; [unrolled: 1-line block ×4, first 2 shown]
	ds_write2_b64 v211, v[68:69], v[2:3] offset1:3
	ds_write2_b64 v211, v[160:161], v[190:191] offset0:6 offset1:9
	v_add_f64 v[60:61], v[10:11], v[32:33]
	v_fma_f64 v[132:133], v[4:5], s[10:11], v[34:35]
	v_add_f64 v[142:143], v[36:37], v[44:45]
	v_fma_f64 v[144:145], v[172:173], s[16:17], v[50:51]
	v_fma_f64 v[20:21], v[168:169], s[14:15], v[40:41]
	ds_write2_b64 v211, v[54:55], v[0:1] offset0:12 offset1:15
	ds_write2_b64 v211, v[148:149], v[14:15] offset0:18 offset1:21
	;; [unrolled: 1-line block ×3, first 2 shown]
	v_fma_f64 v[14:15], v[168:169], s[0:1], v[40:41]
	v_add_f64 v[8:9], v[52:53], -v[70:71]
	v_add_f64 v[10:11], v[48:49], -v[44:45]
	v_add_f64 v[104:105], v[104:105], v[114:115]
	v_add_f64 v[114:115], v[84:85], v[58:59]
	s_waitcnt lgkmcnt(0)
	s_barrier
	buffer_gl0_inv
	ds_read2_b64 v[4:7], v193 offset1:90
	ds_read2_b64 v[0:3], v194 offset0:52 offset1:142
	ds_read2_b64 v[32:35], v197 offset0:28 offset1:118
	;; [unrolled: 1-line block ×8, first 2 shown]
	v_mul_f64 v[186:187], v[12:13], s[16:17]
	v_fma_f64 v[146:147], v[146:147], -0.5, v[62:63]
	v_add_f64 v[190:191], v[62:63], v[66:67]
	v_add_f64 v[92:93], v[94:95], -v[92:93]
	v_fma_f64 v[62:63], v[150:151], -0.5, v[62:63]
	v_add_f64 v[82:83], v[90:91], -v[82:83]
	v_fma_f64 v[94:95], v[164:165], -0.5, v[56:57]
	v_add_f64 v[102:103], v[102:103], -v[116:117]
	v_add_f64 v[148:149], v[142:143], v[60:61]
	v_add_f64 v[152:153], v[144:145], v[132:133]
	v_fma_f64 v[162:163], v[175:176], s[10:11], v[20:21]
	v_mul_f64 v[116:117], v[120:121], s[20:21]
	v_fma_f64 v[180:181], v[175:176], s[12:13], v[14:15]
	v_fma_f64 v[175:176], v[175:176], s[14:15], v[217:218]
	v_add_f64 v[160:161], v[8:9], v[10:11]
	ds_read2_b64 v[8:11], v201 offset0:36 offset1:126
	ds_read2_b64 v[48:51], v200 offset0:104 offset1:194
	;; [unrolled: 1-line block ×6, first 2 shown]
	s_waitcnt lgkmcnt(0)
	s_barrier
	buffer_gl0_inv
	v_add_f64 v[150:151], v[56:57], v[84:85]
	v_mul_f64 v[122:123], v[122:123], s[18:19]
	v_add_f64 v[88:89], v[88:89], v[106:107]
	v_fma_f64 v[56:57], v[114:115], -0.5, v[56:57]
	v_add_f64 v[106:107], v[108:109], -v[112:113]
	v_add_f64 v[104:105], v[104:105], v[110:111]
	v_add_f64 v[108:109], v[66:67], -v[74:75]
	v_add_f64 v[110:111], v[64:65], -v[72:73]
	v_add_f64 v[112:113], v[190:191], v[74:75]
	ds_write2_b64 v183, v[148:149], v[152:153] offset1:3
	v_fma_f64 v[114:115], v[92:93], s[0:1], v[146:147]
	v_fma_f64 v[146:147], v[92:93], s[14:15], v[146:147]
	v_add_f64 v[66:67], v[74:75], -v[66:67]
	v_fma_f64 v[148:149], v[168:169], s[12:13], v[175:176]
	v_fma_f64 v[90:91], v[160:161], s[16:17], v[162:163]
	;; [unrolled: 1-line block ×3, first 2 shown]
	v_add_f64 v[74:75], v[72:73], -v[64:65]
	v_fma_f64 v[152:153], v[82:83], s[14:15], v[62:63]
	v_fma_f64 v[62:63], v[82:83], s[0:1], v[62:63]
	v_add_f64 v[160:161], v[84:85], -v[100:101]
	v_add_f64 v[162:163], v[58:59], -v[80:81]
	v_fma_f64 v[164:165], v[102:103], s[0:1], v[94:95]
	v_fma_f64 v[116:117], v[118:119], s[0:1], v[116:117]
	;; [unrolled: 1-line block ×3, first 2 shown]
	v_add_f64 v[84:85], v[100:101], -v[84:85]
	v_add_f64 v[88:89], v[88:89], v[98:99]
	v_fma_f64 v[98:99], v[130:131], s[10:11], v[122:123]
	v_fma_f64 v[122:123], v[106:107], s[14:15], v[56:57]
	;; [unrolled: 1-line block ×3, first 2 shown]
	v_add_f64 v[96:97], v[104:105], v[96:97]
	v_add_f64 v[104:105], v[108:109], v[110:111]
	;; [unrolled: 1-line block ×3, first 2 shown]
	v_fma_f64 v[108:109], v[82:83], s[10:11], v[114:115]
	v_fma_f64 v[82:83], v[82:83], s[12:13], v[146:147]
	v_mul_f64 v[114:115], v[170:171], s[16:17]
	v_fma_f64 v[118:119], v[172:173], s[16:17], v[148:149]
	v_add_f64 v[148:149], v[150:151], v[100:101]
	v_add_f64 v[100:101], v[80:81], -v[58:59]
	v_add_f64 v[66:67], v[66:67], v[74:75]
	v_mul_f64 v[74:75], v[128:129], s[22:23]
	v_fma_f64 v[110:111], v[92:93], s[10:11], v[152:153]
	v_fma_f64 v[62:63], v[92:93], s[12:13], v[62:63]
	v_add_f64 v[92:93], v[160:161], v[162:163]
	v_fma_f64 v[112:113], v[106:107], s[10:11], v[164:165]
	v_mul_f64 v[128:129], v[138:139], s[18:19]
	v_fma_f64 v[94:95], v[106:107], s[12:13], v[94:95]
	v_mul_f64 v[106:107], v[154:155], s[20:21]
	v_add_f64 v[86:87], v[88:89], v[86:87]
	v_mul_f64 v[130:131], v[156:157], s[20:21]
	v_fma_f64 v[122:123], v[102:103], s[10:11], v[122:123]
	v_fma_f64 v[56:57], v[102:103], s[12:13], v[56:57]
	v_mul_f64 v[102:103], v[215:216], s[16:17]
	v_mul_f64 v[138:139], v[158:159], s[18:19]
	v_fma_f64 v[124:125], v[124:125], s[0:1], v[186:187]
	v_add_f64 v[78:79], v[96:97], v[78:79]
	v_add_f64 v[64:65], v[72:73], v[64:65]
	v_fma_f64 v[72:73], v[104:105], s[16:17], v[108:109]
	v_fma_f64 v[82:83], v[104:105], s[16:17], v[82:83]
	v_add_f64 v[80:81], v[148:149], v[80:81]
	v_add_f64 v[84:85], v[84:85], v[100:101]
	v_mul_f64 v[100:101], v[221:222], s[22:23]
	v_fma_f64 v[74:75], v[126:127], s[10:11], v[74:75]
	v_fma_f64 v[104:105], v[66:67], s[16:17], v[110:111]
	;; [unrolled: 1-line block ×4, first 2 shown]
	v_add_f64 v[60:61], v[142:143], -v[60:61]
	v_add_f64 v[142:143], v[120:121], v[116:117]
	v_add_f64 v[96:97], v[118:119], v[98:99]
	v_fma_f64 v[66:67], v[134:135], s[0:1], v[106:107]
	v_fma_f64 v[106:107], v[184:185], s[10:11], v[128:129]
	v_add_f64 v[76:77], v[86:87], v[76:77]
	v_fma_f64 v[86:87], v[92:93], s[16:17], v[94:95]
	v_add_f64 v[110:111], v[144:145], -v[132:133]
	v_add_f64 v[98:99], v[118:119], -v[98:99]
	v_mov_b32_e32 v191, 0x960
	v_add_f64 v[88:89], v[90:91], v[124:125]
	v_add_f64 v[90:91], v[90:91], -v[124:125]
	v_add_f64 v[114:115], v[64:65], v[78:79]
	v_add_f64 v[64:65], v[64:65], -v[78:79]
	ds_write2_b64 v183, v[88:89], v[142:143] offset0:6 offset1:9
	ds_write2_b64 v183, v[96:97], v[60:61] offset0:12 offset1:15
	v_add_f64 v[58:59], v[80:81], v[58:59]
	v_fma_f64 v[80:81], v[92:93], s[16:17], v[112:113]
	v_fma_f64 v[92:93], v[166:167], s[10:11], v[100:101]
	;; [unrolled: 1-line block ×7, first 2 shown]
	v_add_f64 v[112:113], v[120:121], -v[116:117]
	v_add_f64 v[116:117], v[72:73], v[74:75]
	v_add_f64 v[72:73], v[72:73], -v[74:75]
	v_add_f64 v[74:75], v[104:105], v[108:109]
	;; [unrolled: 2-line block ×4, first 2 shown]
	v_add_f64 v[82:83], v[82:83], -v[106:107]
	v_mul_lo_u16 v120, 0x89, v179
	v_mul_lo_u16 v60, 0x89, v178
	ds_write2_b64 v183, v[110:111], v[90:91] offset0:18 offset1:21
	ds_write2_b64 v183, v[112:113], v[98:99] offset0:24 offset1:27
	ds_write2_b64 v182, v[114:115], v[116:117] offset1:3
	v_add_f64 v[106:107], v[58:59], v[76:77]
	v_add_f64 v[58:59], v[58:59], -v[76:77]
	v_add_f64 v[76:77], v[80:81], v[92:93]
	v_add_f64 v[108:109], v[56:57], v[100:101]
	;; [unrolled: 1-line block ×3, first 2 shown]
	v_add_f64 v[56:57], v[56:57], -v[100:101]
	v_add_f64 v[86:87], v[86:87], -v[102:103]
	;; [unrolled: 1-line block ×3, first 2 shown]
	v_add_f64 v[92:93], v[94:95], v[84:85]
	v_add_f64 v[84:85], v[94:95], -v[84:85]
	v_lshrrev_b16 v213, 12, v120
	v_lshrrev_b16 v209, 12, v60
	ds_write2_b64 v182, v[74:75], v[104:105] offset0:6 offset1:9
	ds_write2_b64 v182, v[66:67], v[64:65] offset0:12 offset1:15
	;; [unrolled: 1-line block ×4, first 2 shown]
	ds_write2_b64 v211, v[106:107], v[76:77] offset1:3
	ds_write2_b64 v211, v[92:93], v[108:109] offset0:6 offset1:9
	v_mul_lo_u16 v61, v213, 30
	v_mul_lo_u16 v60, v209, 30
	ds_write2_b64 v211, v[118:119], v[58:59] offset0:12 offset1:15
	ds_write2_b64 v211, v[80:81], v[84:85] offset0:18 offset1:21
	;; [unrolled: 1-line block ×3, first 2 shown]
	s_waitcnt lgkmcnt(0)
	v_sub_nc_u16 v214, v174, v61
	v_sub_nc_u16 v210, v206, v60
	s_barrier
	buffer_gl0_inv
	v_mov_b32_e32 v57, 0x8889
	v_mul_u32_u24_sdwa v61, v214, v177 dst_sel:DWORD dst_unused:UNUSED_PAD src0_sel:BYTE_0 src1_sel:DWORD
	v_mul_u32_u24_sdwa v56, v210, v177 dst_sel:DWORD dst_unused:UNUSED_PAD src0_sel:BYTE_0 src1_sel:DWORD
	v_mul_u32_u24_sdwa v57, v207, v57 dst_sel:DWORD dst_unused:UNUSED_PAD src0_sel:WORD_0 src1_sel:DWORD
	v_lshlrev_b32_e32 v58, 4, v61
	v_lshlrev_b32_e32 v56, 4, v56
	v_lshrrev_b32_e32 v211, 20, v57
	s_clause 0xa
	global_load_dwordx4 v[160:163], v58, s[8:9] offset:448
	global_load_dwordx4 v[164:167], v56, s[8:9] offset:448
	;; [unrolled: 1-line block ×11, first 2 shown]
	v_mul_lo_u16 v57, v211, 30
	s_clause 0x1
	global_load_dwordx4 v[140:143], v56, s[8:9] offset:512
	global_load_dwordx4 v[128:131], v56, s[8:9] offset:544
	v_sub_nc_u16 v212, v207, v57
	v_mul_u32_u24_sdwa v57, v212, v177 dst_sel:DWORD dst_unused:UNUSED_PAD src0_sel:WORD_0 src1_sel:DWORD
	v_lshlrev_b32_e32 v57, 4, v57
	s_clause 0xd
	global_load_dwordx4 v[132:135], v56, s[8:9] offset:432
	global_load_dwordx4 v[120:123], v57, s[8:9] offset:432
	;; [unrolled: 1-line block ×14, first 2 shown]
	ds_read2_b64 v[175:178], v197 offset0:28 offset1:118
	ds_read2_b64 v[227:230], v195 offset0:56 offset1:146
	;; [unrolled: 1-line block ×7, first 2 shown]
	s_waitcnt vmcnt(25) lgkmcnt(6)
	v_mul_f64 v[172:173], v[177:178], v[166:167]
	s_waitcnt vmcnt(24)
	v_mul_f64 v[179:180], v[30:31], v[217:218]
	s_waitcnt vmcnt(23)
	v_mul_f64 v[231:232], v[18:19], v[221:222]
	v_mul_f64 v[166:167], v[34:35], v[166:167]
	s_waitcnt vmcnt(22) lgkmcnt(5)
	v_mul_f64 v[233:234], v[227:228], v[185:186]
	s_waitcnt vmcnt(20)
	v_mul_f64 v[237:238], v[38:39], v[225:226]
	v_mul_f64 v[168:169], v[175:176], v[162:163]
	v_mul_f64 v[162:163], v[32:33], v[162:163]
	s_waitcnt vmcnt(19)
	v_mul_f64 v[239:240], v[10:11], v[158:159]
	v_mul_f64 v[235:236], v[229:230], v[189:190]
	;; [unrolled: 1-line block ×3, first 2 shown]
	s_waitcnt lgkmcnt(3)
	v_mul_f64 v[225:226], v[146:147], v[225:226]
	s_waitcnt vmcnt(18)
	v_mul_f64 v[241:242], v[52:53], v[154:155]
	s_waitcnt lgkmcnt(2)
	v_mul_f64 v[217:218], v[106:107], v[217:218]
	s_waitcnt lgkmcnt(1)
	v_mul_f64 v[221:222], v[98:99], v[221:222]
	s_waitcnt vmcnt(17)
	v_mul_f64 v[243:244], v[2:3], v[126:127]
	v_fma_f64 v[179:180], v[106:107], v[215:216], -v[179:180]
	v_fma_f64 v[166:167], v[177:178], v[164:165], -v[166:167]
	v_fma_f64 v[177:178], v[68:69], v[183:184], v[233:234]
	v_fma_f64 v[146:147], v[146:147], v[223:224], -v[237:238]
	v_fma_f64 v[181:182], v[32:33], v[160:161], v[168:169]
	v_fma_f64 v[170:171], v[175:176], v[160:161], -v[162:163]
	v_mul_f64 v[160:161], v[70:71], v[189:190]
	v_fma_f64 v[168:169], v[34:35], v[164:165], v[172:173]
	v_mul_f64 v[172:173], v[148:149], v[154:155]
	v_fma_f64 v[175:176], v[98:99], v[219:220], -v[231:232]
	s_waitcnt lgkmcnt(0)
	v_mul_f64 v[231:232], v[74:75], v[158:159]
	v_fma_f64 v[106:107], v[74:75], v[156:157], -v[239:240]
	ds_read2_b64 v[162:165], v198 offset0:112 offset1:202
	ds_read2_b64 v[32:35], v194 offset0:52 offset1:142
	v_fma_f64 v[98:99], v[70:71], v[187:188], v[235:236]
	ds_read2_b64 v[68:71], v200 offset0:104 offset1:194
	v_fma_f64 v[154:155], v[227:228], v[183:184], -v[185:186]
	s_waitcnt vmcnt(15)
	v_mul_f64 v[227:228], v[150:151], v[142:143]
	v_mul_f64 v[189:190], v[54:55], v[142:143]
	;; [unrolled: 1-line block ×3, first 2 shown]
	v_fma_f64 v[183:184], v[38:39], v[223:224], v[225:226]
	v_fma_f64 v[142:143], v[30:31], v[215:216], v[217:218]
	v_fma_f64 v[74:75], v[229:230], v[187:188], -v[160:161]
	ds_read2_b64 v[158:161], v192 offset0:132 offset1:222
	v_fma_f64 v[52:53], v[52:53], v[152:153], v[172:173]
	v_add_f64 v[172:173], v[179:180], v[175:176]
	s_waitcnt lgkmcnt(3)
	v_mul_f64 v[187:188], v[162:163], v[138:139]
	s_waitcnt vmcnt(14)
	v_mul_f64 v[38:39], v[164:165], v[130:131]
	v_fma_f64 v[138:139], v[18:19], v[219:220], v[221:222]
	s_waitcnt lgkmcnt(2)
	v_mul_f64 v[30:31], v[34:35], v[126:127]
	v_fma_f64 v[126:127], v[34:35], v[124:125], -v[243:244]
	v_fma_f64 v[156:157], v[10:11], v[156:157], v[231:232]
	v_mul_f64 v[130:131], v[42:43], v[130:131]
	s_waitcnt vmcnt(13) lgkmcnt(1)
	v_mul_f64 v[215:216], v[68:69], v[134:135]
	v_mul_f64 v[134:135], v[48:49], v[134:135]
	v_fma_f64 v[18:19], v[148:149], v[152:153], -v[241:242]
	v_add_f64 v[152:153], v[146:147], v[106:107]
	s_waitcnt vmcnt(12)
	v_mul_f64 v[148:149], v[70:71], v[122:123]
	v_fma_f64 v[10:11], v[54:55], v[140:141], v[227:228]
	v_mul_f64 v[122:123], v[50:51], v[122:123]
	v_fma_f64 v[34:35], v[150:151], v[140:141], -v[189:190]
	s_waitcnt vmcnt(11)
	v_mul_f64 v[140:141], v[144:145], v[118:119]
	v_mul_f64 v[150:151], v[36:37], v[118:119]
	s_waitcnt vmcnt(10)
	v_mul_f64 v[189:190], v[44:45], v[114:115]
	s_waitcnt vmcnt(9) lgkmcnt(0)
	v_mul_f64 v[217:218], v[160:161], v[110:111]
	v_fma_f64 v[54:55], v[162:163], v[136:137], -v[185:186]
	v_fma_f64 v[118:119], v[40:41], v[136:137], v[187:188]
	v_mul_f64 v[187:188], v[158:159], v[114:115]
	v_fma_f64 v[42:43], v[42:43], v[128:129], v[38:39]
	v_mul_f64 v[136:137], v[46:47], v[110:111]
	v_fma_f64 v[2:3], v[2:3], v[124:125], v[30:31]
	v_add_f64 v[124:125], v[142:143], v[138:139]
	v_fma_f64 v[162:163], v[172:173], -0.5, v[126:127]
	v_add_f64 v[172:173], v[183:184], -v[156:157]
	v_fma_f64 v[30:31], v[164:165], v[128:129], -v[130:131]
	v_fma_f64 v[128:129], v[48:49], v[132:133], v[215:216]
	v_fma_f64 v[40:41], v[68:69], v[132:133], -v[134:135]
	v_add_f64 v[48:49], v[183:184], v[156:157]
	v_add_f64 v[130:131], v[142:143], -v[138:139]
	v_fma_f64 v[132:133], v[152:153], -0.5, v[126:127]
	v_fma_f64 v[50:51], v[50:51], v[120:121], v[148:149]
	v_fma_f64 v[38:39], v[70:71], v[120:121], -v[122:123]
	s_waitcnt vmcnt(8)
	v_mul_f64 v[120:121], v[104:105], v[102:103]
	v_fma_f64 v[70:71], v[36:37], v[116:117], v[140:141]
	v_fma_f64 v[68:69], v[144:145], v[116:117], -v[150:151]
	v_fma_f64 v[110:111], v[158:159], v[112:113], -v[189:190]
	v_add_f64 v[140:141], v[179:180], -v[146:147]
	v_add_f64 v[144:145], v[175:176], -v[106:107]
	v_add_f64 v[148:149], v[181:182], v[118:119]
	v_fma_f64 v[134:135], v[44:45], v[112:113], v[187:188]
	v_fma_f64 v[112:113], v[46:47], v[108:109], v[217:218]
	v_add_f64 v[44:45], v[146:147], -v[179:180]
	v_add_f64 v[46:47], v[106:107], -v[175:176]
	v_fma_f64 v[36:37], v[160:161], v[108:109], -v[136:137]
	v_add_f64 v[108:109], v[177:178], v[52:53]
	v_fma_f64 v[122:123], v[124:125], -0.5, v[2:3]
	v_add_f64 v[124:125], v[146:147], -v[106:107]
	v_fma_f64 v[136:137], v[172:173], s[0:1], v[162:163]
	v_add_f64 v[150:151], v[179:180], -v[175:176]
	v_fma_f64 v[48:49], v[48:49], -0.5, v[2:3]
	v_mul_f64 v[102:103], v[28:29], v[102:103]
	v_fma_f64 v[152:153], v[130:131], s[14:15], v[132:133]
	v_fma_f64 v[132:133], v[130:131], s[0:1], v[132:133]
	;; [unrolled: 1-line block ×3, first 2 shown]
	ds_read2_b64 v[114:117], v204 offset0:160 offset1:250
	v_fma_f64 v[28:29], v[28:29], v[100:101], v[120:121]
	v_add_f64 v[2:3], v[2:3], v[183:184]
	v_add_f64 v[160:161], v[183:184], -v[142:143]
	v_add_f64 v[162:163], v[156:157], -v[138:139]
	;; [unrolled: 1-line block ×5, first 2 shown]
	s_waitcnt vmcnt(7)
	v_mul_f64 v[189:190], v[24:25], v[94:95]
	v_add_f64 v[215:216], v[154:155], -v[18:19]
	v_add_f64 v[46:47], v[44:45], v[46:47]
	v_add_f64 v[44:45], v[4:5], v[181:182]
	v_fma_f64 v[108:109], v[108:109], -0.5, v[4:5]
	v_fma_f64 v[4:5], v[148:149], -0.5, v[4:5]
	v_fma_f64 v[187:188], v[124:125], s[14:15], v[122:123]
	v_fma_f64 v[136:137], v[130:131], s[10:11], v[136:137]
	v_add_f64 v[140:141], v[140:141], v[144:145]
	v_fma_f64 v[144:145], v[150:151], s[0:1], v[48:49]
	v_fma_f64 v[148:149], v[150:151], s[14:15], v[48:49]
	;; [unrolled: 1-line block ×3, first 2 shown]
	s_waitcnt lgkmcnt(0)
	v_mul_f64 v[120:121], v[114:115], v[94:95]
	v_fma_f64 v[132:133], v[172:173], s[12:13], v[132:133]
	v_fma_f64 v[94:95], v[104:105], v[100:101], -v[102:103]
	v_fma_f64 v[100:101], v[124:125], s[0:1], v[122:123]
	v_fma_f64 v[104:105], v[130:131], s[12:13], v[158:159]
	s_waitcnt vmcnt(6)
	v_mul_f64 v[130:131], v[116:117], v[82:83]
	v_mul_f64 v[158:159], v[26:27], v[82:83]
	v_add_f64 v[82:83], v[2:3], v[142:143]
	v_add_f64 v[142:143], v[181:182], -v[177:178]
	v_add_f64 v[172:173], v[118:119], -v[52:53]
	v_add_f64 v[160:161], v[160:161], v[162:163]
	v_add_f64 v[162:163], v[164:165], v[183:184]
	v_add_f64 v[217:218], v[52:53], -v[118:119]
	v_add_f64 v[164:165], v[44:45], v[177:178]
	v_fma_f64 v[183:184], v[185:186], s[14:15], v[108:109]
	v_fma_f64 v[219:220], v[215:216], s[0:1], v[4:5]
	;; [unrolled: 1-line block ×4, first 2 shown]
	v_add_f64 v[136:137], v[177:178], -v[181:182]
	v_fma_f64 v[221:222], v[215:216], s[14:15], v[4:5]
	v_fma_f64 v[144:145], v[124:125], s[12:13], v[144:145]
	;; [unrolled: 1-line block ×9, first 2 shown]
	ds_read2_b64 v[2:5], v203 offset0:60 offset1:150
	ds_read2_b64 v[120:123], v205 offset0:88 offset1:178
	v_fma_f64 v[24:25], v[114:115], v[92:93], -v[189:190]
	s_waitcnt vmcnt(5)
	v_mul_f64 v[114:115], v[20:21], v[78:79]
	s_waitcnt vmcnt(4)
	v_mul_f64 v[148:149], v[12:13], v[86:87]
	v_add_f64 v[138:139], v[82:83], v[138:139]
	v_add_f64 v[142:143], v[142:143], v[172:173]
	;; [unrolled: 1-line block ×3, first 2 shown]
	v_fma_f64 v[152:153], v[215:216], s[12:13], v[183:184]
	v_fma_f64 v[172:173], v[185:186], s[12:13], v[219:220]
	v_fma_f64 v[46:47], v[160:161], s[16:17], v[187:188]
	v_mul_f64 v[164:165], v[48:49], s[12:13]
	v_add_f64 v[136:137], v[136:137], v[217:218]
	v_fma_f64 v[183:184], v[185:186], s[10:11], v[221:222]
	v_fma_f64 v[104:105], v[162:163], s[16:17], v[144:145]
	;; [unrolled: 1-line block ×3, first 2 shown]
	v_mul_f64 v[124:125], v[44:45], s[14:15]
	v_mul_f64 v[144:145], v[102:103], s[14:15]
	v_fma_f64 v[162:163], v[215:216], s[10:11], v[108:109]
	v_fma_f64 v[82:83], v[160:161], s[16:17], v[132:133]
	;; [unrolled: 1-line block ×3, first 2 shown]
	s_waitcnt vmcnt(3)
	v_mul_f64 v[130:131], v[96:97], v[90:91]
	s_waitcnt lgkmcnt(1)
	v_mul_f64 v[160:161], v[2:3], v[78:79]
	s_waitcnt lgkmcnt(0)
	v_mul_f64 v[86:87], v[120:121], v[86:87]
	v_mul_f64 v[132:133], v[100:101], s[12:13]
	v_fma_f64 v[78:79], v[2:3], v[76:77], -v[114:115]
	s_waitcnt vmcnt(1)
	v_mul_f64 v[114:115], v[72:73], v[62:63]
	v_mul_f64 v[187:188], v[8:9], v[62:63]
	v_fma_f64 v[62:63], v[120:121], v[84:85], -v[148:149]
	v_mul_f64 v[90:91], v[16:17], v[90:91]
	v_mul_f64 v[185:186], v[4:5], v[66:67]
	;; [unrolled: 1-line block ×3, first 2 shown]
	v_add_f64 v[120:121], v[138:139], v[156:157]
	v_add_f64 v[138:139], v[150:151], v[118:119]
	v_fma_f64 v[148:149], v[142:143], s[16:17], v[152:153]
	v_fma_f64 v[150:151], v[46:47], s[22:23], v[164:165]
	s_waitcnt vmcnt(0)
	v_mul_f64 v[152:153], v[122:123], v[58:59]
	v_fma_f64 v[156:157], v[136:137], s[16:17], v[172:173]
	v_fma_f64 v[136:137], v[136:137], s[16:17], v[183:184]
	;; [unrolled: 1-line block ×4, first 2 shown]
	v_fma_f64 v[26:27], v[116:117], v[80:81], -v[158:159]
	v_mul_f64 v[58:59], v[14:15], v[58:59]
	v_fma_f64 v[80:81], v[16:17], v[88:89], v[130:131]
	v_fma_f64 v[16:17], v[20:21], v[76:77], v[160:161]
	;; [unrolled: 1-line block ×6, first 2 shown]
	v_fma_f64 v[60:61], v[72:73], v[60:61], -v[187:188]
	v_add_f64 v[84:85], v[110:111], v[62:63]
	v_fma_f64 v[66:67], v[96:97], v[88:89], -v[90:91]
	v_fma_f64 v[12:13], v[22:23], v[64:65], v[185:186]
	v_add_f64 v[22:23], v[24:25], v[78:79]
	v_fma_f64 v[76:77], v[4:5], v[64:65], -v[2:3]
	v_add_f64 v[86:87], v[138:139], v[120:121]
	v_add_f64 v[114:115], v[138:139], -v[120:121]
	v_add_f64 v[88:89], v[148:149], v[150:151]
	v_fma_f64 v[14:15], v[14:15], v[56:57], v[152:153]
	v_add_f64 v[120:121], v[168:169], v[42:43]
	v_add_f64 v[138:139], v[128:129], v[134:135]
	;; [unrolled: 1-line block ×4, first 2 shown]
	v_mul_u32_u24_sdwa v2, v213, v191 dst_sel:DWORD dst_unused:UNUSED_PAD src0_sel:WORD_0 src1_sel:DWORD
	v_fma_f64 v[64:65], v[122:123], v[56:57], -v[58:59]
	v_lshlrev_b32_sdwa v3, v208, v214 dst_sel:DWORD dst_unused:UNUSED_PAD src0_sel:DWORD src1_sel:BYTE_0
	v_add_f64 v[56:57], v[140:141], v[16:17]
	v_add_f64 v[122:123], v[134:135], v[20:21]
	v_add_f64 v[130:131], v[140:141], -v[16:17]
	v_add_f64 v[116:117], v[142:143], v[132:133]
	v_add3_u32 v72, 0, v2, v3
	ds_read2_b64 v[2:5], v193 offset1:90
	v_fma_f64 v[84:85], v[84:85], -0.5, v[40:41]
	v_add_f64 v[58:59], v[134:135], -v[20:21]
	s_waitcnt lgkmcnt(0)
	v_fma_f64 v[22:23], v[22:23], -0.5, v[40:41]
	s_barrier
	buffer_gl0_inv
	v_add_f64 v[132:133], v[142:143], -v[132:133]
	ds_write2_b64 v72, v[86:87], v[88:89] offset1:30
	v_add_f64 v[86:87], v[148:149], -v[150:151]
	v_add_f64 v[88:89], v[156:157], -v[124:125]
	v_add_f64 v[124:125], v[98:99], v[10:11]
	ds_write2_b64 v72, v[90:91], v[96:97] offset0:60 offset1:90
	ds_write2_b64 v72, v[116:117], v[114:115] offset0:120 offset1:150
	v_fma_f64 v[90:91], v[120:121], -0.5, v[6:7]
	v_add_f64 v[96:97], v[110:111], -v[24:25]
	v_add_f64 v[114:115], v[62:63], -v[78:79]
	v_fma_f64 v[56:57], v[56:57], -0.5, v[128:129]
	v_add_f64 v[116:117], v[110:111], -v[62:63]
	v_add_f64 v[120:121], v[74:75], -v[34:35]
	v_fma_f64 v[122:123], v[122:123], -0.5, v[128:129]
	v_add_f64 v[142:143], v[24:25], -v[78:79]
	v_add_f64 v[138:139], v[138:139], v[140:141]
	v_add_f64 v[148:149], v[24:25], -v[110:111]
	v_add_f64 v[150:151], v[78:79], -v[62:63]
	v_fma_f64 v[152:153], v[130:131], s[14:15], v[84:85]
	v_fma_f64 v[84:85], v[130:131], s[0:1], v[84:85]
	;; [unrolled: 1-line block ×3, first 2 shown]
	v_add_f64 v[156:157], v[134:135], -v[140:141]
	v_add_f64 v[158:159], v[20:21], -v[16:17]
	v_fma_f64 v[124:125], v[124:125], -0.5, v[6:7]
	v_add_f64 v[160:161], v[98:99], -v[168:169]
	v_add_f64 v[162:163], v[10:11], -v[42:43]
	;; [unrolled: 1-line block ×4, first 2 shown]
	v_fma_f64 v[22:23], v[58:59], s[14:15], v[22:23]
	ds_write2_b64 v72, v[86:87], v[88:89] offset0:180 offset1:210
	v_add_f64 v[88:89], v[26:27], v[76:77]
	v_add_f64 v[96:97], v[96:97], v[114:115]
	v_add_f64 v[114:115], v[166:167], -v[30:31]
	v_fma_f64 v[164:165], v[116:117], s[14:15], v[56:57]
	v_fma_f64 v[172:173], v[120:121], s[0:1], v[90:91]
	;; [unrolled: 1-line block ×5, first 2 shown]
	v_add_f64 v[16:17], v[138:139], v[16:17]
	v_add_f64 v[136:137], v[136:137], -v[144:145]
	v_add_f64 v[148:149], v[148:149], v[150:151]
	v_fma_f64 v[150:151], v[58:59], s[10:11], v[152:153]
	v_fma_f64 v[58:59], v[58:59], s[12:13], v[84:85]
	;; [unrolled: 1-line block ×3, first 2 shown]
	v_add_f64 v[138:139], v[36:37], v[64:65]
	v_add_f64 v[144:145], v[168:169], -v[98:99]
	v_fma_f64 v[128:129], v[130:131], s[10:11], v[128:129]
	v_add_f64 v[185:186], v[42:43], -v[10:11]
	v_add_f64 v[84:85], v[156:157], v[158:159]
	v_add_f64 v[86:87], v[160:161], v[162:163]
	v_add_f64 v[134:135], v[134:135], v[140:141]
	v_fma_f64 v[22:23], v[130:131], s[12:13], v[22:23]
	v_fma_f64 v[88:89], v[88:89], -0.5, v[38:39]
	v_add_nc_u32_e32 v73, 0x400, v72
	v_fma_f64 v[130:131], v[114:115], s[14:15], v[124:125]
	v_fma_f64 v[140:141], v[142:143], s[12:13], v[164:165]
	;; [unrolled: 1-line block ×6, first 2 shown]
	v_add_f64 v[16:17], v[16:17], v[20:21]
	v_add_f64 v[20:21], v[108:109], v[12:13]
	v_fma_f64 v[114:115], v[114:115], s[0:1], v[124:125]
	v_add_f64 v[124:125], v[112:113], -v[14:15]
	ds_write2_b64 v73, v[136:137], v[132:133] offset0:112 offset1:142
	v_fma_f64 v[136:137], v[148:149], s[16:17], v[58:59]
	v_add_f64 v[58:59], v[112:113], v[14:15]
	v_fma_f64 v[56:57], v[142:143], s[10:11], v[56:57]
	v_add_f64 v[142:143], v[108:109], -v[12:13]
	v_fma_f64 v[138:139], v[138:139], -0.5, v[38:39]
	v_add_f64 v[6:7], v[6:7], v[168:169]
	v_fma_f64 v[128:129], v[96:97], s[16:17], v[128:129]
	v_add_f64 v[122:123], v[144:145], v[185:186]
	v_fma_f64 v[132:133], v[148:149], s[16:17], v[150:151]
	v_fma_f64 v[96:97], v[96:97], s[16:17], v[22:23]
	v_add_f64 v[148:149], v[70:71], v[8:9]
	v_fma_f64 v[22:23], v[120:121], s[12:13], v[130:131]
	v_fma_f64 v[130:131], v[84:85], s[16:17], v[140:141]
	v_fma_f64 v[140:141], v[86:87], s[16:17], v[152:153]
	v_add_f64 v[152:153], v[36:37], -v[26:27]
	v_fma_f64 v[144:145], v[134:135], s[16:17], v[156:157]
	v_fma_f64 v[116:117], v[134:135], s[16:17], v[116:117]
	v_add_f64 v[134:135], v[28:29], v[80:81]
	v_add_f64 v[156:157], v[64:65], -v[76:77]
	v_fma_f64 v[20:21], v[20:21], -0.5, v[50:51]
	v_add_f64 v[158:159], v[26:27], -v[36:37]
	v_add_f64 v[160:161], v[76:77], -v[64:65]
	;; [unrolled: 1-line block ×3, first 2 shown]
	v_fma_f64 v[164:165], v[124:125], s[0:1], v[88:89]
	v_fma_f64 v[58:59], v[58:59], -0.5, v[50:51]
	v_add_f64 v[172:173], v[26:27], -v[76:77]
	v_fma_f64 v[114:115], v[120:121], s[10:11], v[114:115]
	v_fma_f64 v[120:121], v[142:143], s[0:1], v[138:139]
	;; [unrolled: 1-line block ×3, first 2 shown]
	v_add_f64 v[6:7], v[6:7], v[98:99]
	v_fma_f64 v[183:184], v[142:143], s[14:15], v[138:139]
	v_add_f64 v[50:51], v[50:51], v[112:113]
	v_add_f64 v[185:186], v[112:113], -v[108:109]
	v_add_f64 v[187:188], v[14:15], -v[12:13]
	v_fma_f64 v[148:149], v[148:149], -0.5, v[0:1]
	v_add_f64 v[112:113], v[108:109], -v[112:113]
	v_add_f64 v[213:214], v[12:13], -v[14:15]
	;; [unrolled: 1-line block ×4, first 2 shown]
	v_fma_f64 v[134:135], v[134:135], -0.5, v[0:1]
	v_add_f64 v[0:1], v[0:1], v[70:71]
	v_add_f64 v[152:153], v[152:153], v[156:157]
	v_add_f64 v[217:218], v[80:81], -v[8:9]
	v_add_f64 v[156:157], v[158:159], v[160:161]
	v_fma_f64 v[158:159], v[162:163], s[14:15], v[20:21]
	v_fma_f64 v[160:161], v[142:143], s[10:11], v[164:165]
	;; [unrolled: 1-line block ×7, first 2 shown]
	v_add_f64 v[6:7], v[6:7], v[10:11]
	v_fma_f64 v[183:184], v[124:125], s[10:11], v[183:184]
	v_add_f64 v[124:125], v[70:71], -v[28:29]
	v_add_f64 v[142:143], v[8:9], -v[80:81]
	v_add_f64 v[50:51], v[50:51], v[108:109]
	v_add_f64 v[185:186], v[185:186], v[187:188]
	v_add_f64 v[108:109], v[28:29], -v[70:71]
	v_add_f64 v[112:113], v[112:113], v[213:214]
	v_fma_f64 v[86:87], v[86:87], s[16:17], v[90:91]
	v_fma_f64 v[187:188], v[189:190], s[0:1], v[148:149]
	;; [unrolled: 1-line block ×3, first 2 shown]
	v_add_f64 v[0:1], v[0:1], v[28:29]
	v_fma_f64 v[148:149], v[189:190], s[14:15], v[148:149]
	v_fma_f64 v[134:135], v[215:216], s[0:1], v[134:135]
	v_mul_f64 v[90:91], v[128:129], s[12:13]
	v_fma_f64 v[158:159], v[172:173], s[12:13], v[158:159]
	v_fma_f64 v[160:161], v[152:153], s[16:17], v[160:161]
	;; [unrolled: 1-line block ×7, first 2 shown]
	v_mul_f64 v[150:151], v[132:133], s[14:15]
	v_mul_f64 v[138:139], v[136:137], s[14:15]
	v_add_f64 v[6:7], v[6:7], v[42:43]
	v_fma_f64 v[183:184], v[156:157], s[16:17], v[183:184]
	v_fma_f64 v[84:85], v[84:85], s[16:17], v[56:57]
	v_mul_f64 v[56:57], v[96:97], s[12:13]
	v_add_f64 v[124:125], v[124:125], v[142:143]
	v_add_f64 v[12:13], v[50:51], v[12:13]
	;; [unrolled: 1-line block ×3, first 2 shown]
	v_fma_f64 v[108:109], v[215:216], s[12:13], v[187:188]
	v_fma_f64 v[152:153], v[189:190], s[12:13], v[213:214]
	v_add_f64 v[0:1], v[0:1], v[80:81]
	v_fma_f64 v[142:143], v[215:216], s[10:11], v[148:149]
	v_fma_f64 v[134:135], v[189:190], s[10:11], v[134:135]
	v_add_f64 v[126:127], v[126:127], v[146:147]
	v_fma_f64 v[156:157], v[185:186], s[16:17], v[158:159]
	v_mul_f64 v[158:159], v[160:161], s[12:13]
	v_fma_f64 v[172:173], v[185:186], s[16:17], v[20:21]
	v_fma_f64 v[162:163], v[112:113], s[16:17], v[164:165]
	;; [unrolled: 1-line block ×3, first 2 shown]
	v_mul_f64 v[58:59], v[120:121], s[14:15]
	v_mul_f64 v[20:21], v[88:89], s[12:13]
	v_fma_f64 v[22:23], v[122:123], s[16:17], v[22:23]
	v_fma_f64 v[90:91], v[130:131], s[22:23], v[90:91]
	;; [unrolled: 1-line block ×4, first 2 shown]
	v_add_f64 v[148:149], v[154:155], v[18:19]
	v_mul_f64 v[164:165], v[183:184], s[14:15]
	v_fma_f64 v[114:115], v[122:123], s[16:17], v[114:115]
	v_add_f64 v[122:123], v[6:7], v[16:17]
	v_add_f64 v[185:186], v[2:3], v[170:171]
	v_add_f64 v[6:7], v[6:7], -v[16:17]
	v_add_f64 v[16:17], v[181:182], -v[118:119]
	v_add_f64 v[118:119], v[170:171], v[54:55]
	v_fma_f64 v[56:57], v[84:85], s[18:19], v[56:57]
	v_add_f64 v[12:13], v[12:13], v[14:15]
	v_add_f64 v[0:1], v[0:1], v[8:9]
	v_fma_f64 v[14:15], v[124:125], s[16:17], v[152:153]
	v_fma_f64 v[152:153], v[156:157], s[22:23], v[158:159]
	;; [unrolled: 1-line block ×7, first 2 shown]
	v_add_f64 v[126:127], v[126:127], v[179:180]
	v_add_f64 v[134:135], v[170:171], -v[154:155]
	v_add_f64 v[142:143], v[54:55], -v[18:19]
	v_add_f64 v[146:147], v[22:23], v[90:91]
	v_fma_f64 v[148:149], v[148:149], -0.5, v[2:3]
	v_add_f64 v[181:182], v[140:141], v[150:151]
	v_fma_f64 v[158:159], v[162:163], s[16:17], v[164:165]
	v_add_f64 v[22:23], v[22:23], -v[90:91]
	v_add_f64 v[90:91], v[86:87], v[138:139]
	v_add_f64 v[140:141], v[140:141], -v[150:151]
	v_add_f64 v[150:151], v[185:186], v[154:155]
	v_add_f64 v[177:178], v[177:178], -v[52:53]
	v_fma_f64 v[2:3], v[118:119], -0.5, v[2:3]
	v_add_f64 v[164:165], v[114:115], v[56:57]
	v_add_f64 v[86:87], v[86:87], -v[138:139]
	v_add_f64 v[56:57], v[114:115], -v[56:57]
	v_add_f64 v[114:115], v[0:1], v[12:13]
	v_add_f64 v[0:1], v[0:1], -v[12:13]
	v_add_f64 v[12:13], v[14:15], v[152:153]
	v_mul_u32_u24_sdwa v191, v209, v191 dst_sel:DWORD dst_unused:UNUSED_PAD src0_sel:WORD_0 src1_sel:DWORD
	v_lshlrev_b32_sdwa v209, v208, v210 dst_sel:DWORD dst_unused:UNUSED_PAD src0_sel:DWORD src1_sel:BYTE_0
	v_add_f64 v[14:15], v[14:15], -v[152:153]
	v_mul_u32_u24_e32 v152, 0x960, v211
	v_lshlrev_b32_sdwa v153, v208, v212 dst_sel:DWORD dst_unused:UNUSED_PAD src0_sel:DWORD src1_sel:WORD_0
	v_add_f64 v[138:139], v[50:51], v[58:59]
	v_add3_u32 v187, 0, v191, v209
	v_add_f64 v[50:51], v[50:51], -v[58:59]
	v_add_f64 v[58:59], v[124:125], v[20:21]
	v_add_f64 v[20:21], v[124:125], -v[20:21]
	v_add_f64 v[124:125], v[126:127], v[175:176]
	v_add_f64 v[126:127], v[134:135], v[142:143]
	v_add_f64 v[142:143], v[154:155], -v[170:171]
	v_add_nc_u32_e32 v154, 0x400, v187
	v_add3_u32 v155, 0, v152, v153
	v_add_f64 v[118:119], v[108:109], v[158:159]
	v_add_f64 v[134:135], v[150:151], v[18:19]
	v_add_f64 v[18:19], v[18:19], -v[54:55]
	v_fma_f64 v[150:151], v[177:178], s[14:15], v[2:3]
	v_fma_f64 v[2:3], v[177:178], s[0:1], v[2:3]
	ds_write2_b64 v187, v[122:123], v[146:147] offset1:30
	ds_write2_b64 v187, v[181:182], v[90:91] offset0:60 offset1:90
	ds_write2_b64 v187, v[164:165], v[6:7] offset0:120 offset1:150
	;; [unrolled: 1-line block ×4, first 2 shown]
	ds_write2_b64 v155, v[114:115], v[12:13] offset1:30
	v_add_f64 v[6:7], v[74:75], v[34:35]
	v_add_f64 v[108:109], v[108:109], -v[158:159]
	v_add_nc_u32_e32 v158, 0x400, v155
	v_fma_f64 v[52:53], v[16:17], s[0:1], v[148:149]
	ds_write2_b64 v155, v[118:119], v[138:139] offset0:60 offset1:90
	ds_write2_b64 v155, v[58:59], v[0:1] offset0:120 offset1:150
	;; [unrolled: 1-line block ×4, first 2 shown]
	v_add_f64 v[0:1], v[166:167], v[30:31]
	v_add_f64 v[86:87], v[124:125], v[106:107]
	;; [unrolled: 1-line block ×4, first 2 shown]
	v_fma_f64 v[22:23], v[16:17], s[10:11], v[150:151]
	v_fma_f64 v[114:115], v[16:17], s[12:13], v[2:3]
	;; [unrolled: 1-line block ×3, first 2 shown]
	v_add_f64 v[122:123], v[94:95], v[66:67]
	v_add_f64 v[124:125], v[68:69], v[60:61]
	v_fma_f64 v[6:7], v[6:7], -0.5, v[4:5]
	v_add_f64 v[134:135], v[168:169], -v[42:43]
	v_mul_f64 v[138:139], v[44:45], s[16:17]
	v_fma_f64 v[52:53], v[177:178], s[10:11], v[52:53]
	v_add_f64 v[10:11], v[98:99], -v[10:11]
	v_add_f64 v[70:71], v[70:71], -v[8:9]
	v_mul_f64 v[8:9], v[100:101], s[18:19]
	v_add_f64 v[100:101], v[166:167], -v[74:75]
	v_add_f64 v[28:29], v[28:29], -v[80:81]
	;; [unrolled: 1-line block ×5, first 2 shown]
	v_mul_f64 v[48:49], v[48:49], s[22:23]
	v_fma_f64 v[140:141], v[0:1], -0.5, v[4:5]
	v_add_f64 v[4:5], v[4:5], v[166:167]
	v_mul_f64 v[128:129], v[128:129], s[22:23]
	v_mul_f64 v[132:133], v[132:133], s[16:17]
	v_fma_f64 v[98:99], v[20:21], s[16:17], v[22:23]
	v_mul_f64 v[22:23], v[102:103], s[20:21]
	v_fma_f64 v[102:103], v[20:21], s[16:17], v[114:115]
	v_add_f64 v[20:21], v[40:41], v[110:111]
	v_fma_f64 v[110:111], v[177:178], s[12:13], v[118:119]
	v_fma_f64 v[114:115], v[122:123], -0.5, v[32:33]
	v_add_f64 v[118:119], v[30:31], -v[34:35]
	v_fma_f64 v[122:123], v[124:125], -0.5, v[32:33]
	v_add_f64 v[32:33], v[32:33], v[68:69]
	v_fma_f64 v[124:125], v[134:135], s[0:1], v[6:7]
	v_fma_f64 v[142:143], v[134:135], s[14:15], v[6:7]
	;; [unrolled: 1-line block ×3, first 2 shown]
	v_add_f64 v[138:139], v[38:39], v[36:37]
	v_fma_f64 v[108:109], v[126:127], s[16:17], v[52:53]
	v_add_f64 v[68:69], v[94:95], -v[68:69]
	v_mul_f64 v[136:137], v[136:137], s[20:21]
	v_mul_f64 v[96:97], v[96:97], s[18:19]
	;; [unrolled: 1-line block ×3, first 2 shown]
	v_fma_f64 v[80:81], v[10:11], s[14:15], v[140:141]
	v_add_f64 v[146:147], v[4:5], v[74:75]
	v_add_f64 v[74:75], v[74:75], -v[166:167]
	v_mul_f64 v[88:89], v[88:89], s[18:19]
	v_fma_f64 v[90:91], v[46:47], s[10:11], v[48:49]
	v_fma_f64 v[92:93], v[92:93], s[0:1], v[22:23]
	;; [unrolled: 1-line block ×3, first 2 shown]
	v_add_f64 v[140:141], v[20:21], v[24:25]
	v_fma_f64 v[110:111], v[126:127], s[16:17], v[110:111]
	v_fma_f64 v[126:127], v[70:71], s[0:1], v[114:115]
	v_add_f64 v[100:101], v[100:101], v[118:119]
	v_fma_f64 v[114:115], v[70:71], s[14:15], v[114:115]
	v_add_f64 v[32:33], v[32:33], v[94:95]
	v_fma_f64 v[118:119], v[10:11], s[10:11], v[124:125]
	v_fma_f64 v[124:125], v[10:11], s[12:13], v[142:143]
	v_add_f64 v[94:95], v[66:67], -v[60:61]
	v_add_f64 v[138:139], v[138:139], v[26:27]
	v_fma_f64 v[142:143], v[28:29], s[14:15], v[122:123]
	v_fma_f64 v[122:123], v[28:29], s[0:1], v[122:123]
	;; [unrolled: 1-line block ×6, first 2 shown]
	v_add_f64 v[34:35], v[146:147], v[34:35]
	v_add_f64 v[74:75], v[74:75], v[148:149]
	v_mul_f64 v[146:147], v[160:161], s[22:23]
	v_mul_f64 v[148:149], v[183:184], s[16:17]
	v_fma_f64 v[88:89], v[172:173], s[10:11], v[88:89]
	v_fma_f64 v[134:135], v[134:135], s[12:13], v[22:23]
	v_add_f64 v[78:79], v[140:141], v[78:79]
	v_add_f64 v[140:141], v[150:151], v[152:153]
	v_fma_f64 v[126:127], v[28:29], s[10:11], v[126:127]
	s_waitcnt lgkmcnt(0)
	v_fma_f64 v[28:29], v[28:29], s[12:13], v[114:115]
	v_add_f64 v[32:33], v[32:33], v[66:67]
	v_add_f64 v[114:115], v[106:107], v[86:87]
	;; [unrolled: 1-line block ×5, first 2 shown]
	v_fma_f64 v[142:143], v[70:71], s[10:11], v[142:143]
	v_fma_f64 v[70:71], v[70:71], s[12:13], v[122:123]
	v_add_f64 v[94:95], v[98:99], v[104:105]
	v_add_f64 v[138:139], v[102:103], v[92:93]
	v_add_f64 v[86:87], v[106:107], -v[86:87]
	v_add_f64 v[106:107], v[110:111], v[82:83]
	v_add_f64 v[30:31], v[34:35], v[30:31]
	v_fma_f64 v[34:35], v[100:101], s[16:17], v[118:119]
	v_fma_f64 v[80:81], v[74:75], s[16:17], v[80:81]
	;; [unrolled: 1-line block ×5, first 2 shown]
	v_add_f64 v[62:63], v[78:79], v[62:63]
	v_fma_f64 v[78:79], v[100:101], s[16:17], v[124:125]
	v_fma_f64 v[100:101], v[130:131], s[10:11], v[128:129]
	v_add_f64 v[90:91], v[108:109], -v[90:91]
	v_fma_f64 v[28:29], v[140:141], s[16:17], v[28:29]
	v_add_f64 v[32:33], v[32:33], v[60:61]
	v_fma_f64 v[60:61], v[140:141], s[16:17], v[126:127]
	v_add_f64 v[98:99], v[98:99], -v[104:105]
	v_add_f64 v[92:93], v[102:103], -v[92:93]
	v_add_f64 v[64:65], v[76:77], v[64:65]
	v_fma_f64 v[76:77], v[156:157], s[10:11], v[146:147]
	v_fma_f64 v[96:97], v[68:69], s[16:17], v[142:143]
	;; [unrolled: 1-line block ×4, first 2 shown]
	v_add_f64 v[82:83], v[110:111], -v[82:83]
	s_barrier
	buffer_gl0_inv
	ds_read2_b64 v[16:19], v193 offset1:90
	ds_read2_b64 v[56:59], v192 offset0:132 offset1:222
	ds_read2_b64 v[52:55], v255 offset0:8 offset1:98
	;; [unrolled: 1-line block ×3, first 2 shown]
	v_add_f64 v[108:109], v[80:81], v[118:119]
	v_add_f64 v[80:81], v[80:81], -v[118:119]
	v_add_f64 v[110:111], v[74:75], v[116:117]
	v_add_f64 v[102:103], v[30:31], v[62:63]
	v_add_f64 v[74:75], v[74:75], -v[116:117]
	v_add_f64 v[104:105], v[34:35], v[100:101]
	;; [unrolled: 3-line block ×3, first 2 shown]
	v_add_f64 v[62:63], v[30:31], -v[62:63]
	v_add_f64 v[100:101], v[34:35], -v[100:101]
	ds_read2_b64 v[48:51], v195 offset0:56 offset1:146
	v_add_f64 v[84:85], v[32:33], v[64:65]
	v_add_f64 v[116:117], v[60:61], v[76:77]
	v_add_f64 v[60:61], v[60:61], -v[76:77]
	v_add_f64 v[76:77], v[96:97], v[122:123]
	v_add_f64 v[118:119], v[68:69], v[70:71]
	v_add_f64 v[64:65], v[32:33], -v[64:65]
	v_add_f64 v[96:97], v[96:97], -v[122:123]
	ds_read2_b64 v[44:47], v203 offset0:60 offset1:150
	ds_read2_b64 v[0:3], v200 offset0:104 offset1:194
	;; [unrolled: 1-line block ×8, first 2 shown]
	v_add_f64 v[68:69], v[68:69], -v[70:71]
	v_add_f64 v[70:71], v[28:29], -v[88:89]
	ds_read2_b64 v[32:35], v202 offset0:84 offset1:174
	ds_read2_b64 v[28:31], v205 offset0:88 offset1:178
	s_waitcnt lgkmcnt(0)
	s_barrier
	buffer_gl0_inv
	ds_write2_b64 v72, v[114:115], v[66:67] offset1:30
	ds_write2_b64 v72, v[94:95], v[138:139] offset0:60 offset1:90
	ds_write2_b64 v72, v[106:107], v[86:87] offset0:120 offset1:150
	;; [unrolled: 1-line block ×4, first 2 shown]
	ds_write2_b64 v187, v[102:103], v[104:105] offset1:30
	ds_write2_b64 v187, v[108:109], v[110:111] offset0:60 offset1:90
	ds_write2_b64 v187, v[112:113], v[62:63] offset0:120 offset1:150
	;; [unrolled: 1-line block ×4, first 2 shown]
	ds_write2_b64 v155, v[84:85], v[116:117] offset1:30
	v_mov_b32_e32 v93, 0
	v_lshlrev_b32_e32 v92, 1, v174
	ds_write2_b64 v155, v[76:77], v[118:119] offset0:60 offset1:90
	ds_write2_b64 v155, v[120:121], v[64:65] offset0:120 offset1:150
	ds_write2_b64 v155, v[60:61], v[96:97] offset0:180 offset1:210
	v_lshlrev_b32_e32 v60, 1, v206
	v_mov_b32_e32 v61, v93
	v_lshlrev_b64 v[62:63], 4, v[92:93]
	v_add_nc_u32_e32 v96, 0x10e, v174
	v_subrev_nc_u32_e32 v66, 30, v174
	v_add_nc_u32_e32 v103, 0x21c, v174
	v_lshlrev_b64 v[60:61], 4, v[60:61]
	v_mov_b32_e32 v128, 0x6d3b
	v_add_co_u32 v94, s0, s8, v62
	v_add_co_ci_u32_e64 v95, s0, s9, v63, s0
	v_add_co_u32 v97, s0, s8, v60
	v_add_co_ci_u32_e64 v98, s0, s9, v61, s0
	v_add_co_u32 v60, s0, 0x1000, v94
	v_add_co_ci_u32_e64 v61, s0, 0, v95, s0
	v_add_co_u32 v62, s0, 0x1000, v97
	v_add_co_ci_u32_e64 v63, s0, 0, v98, s0
	v_add_co_u32 v64, s0, 0x1290, v94
	v_add_co_ci_u32_e64 v65, s0, 0, v95, s0
	v_add_co_u32 v76, s0, 0x1290, v97
	v_add_co_ci_u32_e64 v77, s0, 0, v98, s0
	v_cmp_gt_u32_e64 s0, 30, v174
	ds_write2_b64 v158, v[68:69], v[70:71] offset0:112 offset1:142
	v_lshlrev_b32_e32 v68, 1, v207
	v_mov_b32_e32 v69, v93
	s_waitcnt lgkmcnt(0)
	v_cndmask_b32_e64 v105, v66, v96, s0
	s_barrier
	buffer_gl0_inv
	v_lshlrev_b64 v[78:79], 4, v[68:69]
	s_clause 0x3
	global_load_dwordx4 v[72:75], v[60:61], off offset:656
	global_load_dwordx4 v[64:67], v[64:65], off offset:16
	;; [unrolled: 1-line block ×4, first 2 shown]
	v_lshlrev_b32_e32 v76, 1, v105
	v_mov_b32_e32 v77, v93
	v_lshrrev_b16 v90, 2, v103
	v_add_co_u32 v101, s0, s8, v78
	v_add_co_ci_u32_e64 v102, s0, s9, v79, s0
	v_lshlrev_b64 v[76:77], 4, v[76:77]
	v_add_co_u32 v78, s0, 0x1000, v101
	v_add_co_ci_u32_e64 v79, s0, 0, v102, s0
	v_mul_u32_u24_sdwa v104, v90, v128 dst_sel:DWORD dst_unused:UNUSED_PAD src0_sel:WORD_0 src1_sel:DWORD
	v_add_co_u32 v88, s0, s8, v76
	v_add_co_ci_u32_e64 v89, s0, s9, v77, s0
	v_add_nc_u32_e32 v76, 0x78, v92
	v_mov_b32_e32 v77, v93
	v_add_co_u32 v80, s0, 0x1290, v101
	v_add_co_ci_u32_e64 v81, s0, 0, v102, s0
	v_add_co_u32 v84, s0, 0x1000, v88
	v_lshlrev_b64 v[86:87], 4, v[76:77]
	v_add_co_ci_u32_e64 v85, s0, 0, v89, s0
	v_add_nc_u32_e32 v92, 0x12c, v92
	v_add_co_u32 v88, s0, 0x1290, v88
	v_add_co_ci_u32_e64 v89, s0, 0, v89, s0
	v_add_co_u32 v108, s0, s8, v86
	v_lshlrev_b64 v[106:107], 4, v[92:93]
	v_lshrrev_b32_e32 v92, 21, v104
	v_add_nc_u32_e32 v104, 0x276, v174
	v_add_co_ci_u32_e64 v109, s0, s9, v87, s0
	v_add_co_u32 v99, s0, 0x1000, v108
	v_lshrrev_b16 v111, 2, v104
	v_add_co_ci_u32_e64 v100, s0, 0, v109, s0
	v_add_co_u32 v108, s0, 0x1290, v108
	v_add_co_ci_u32_e64 v109, s0, 0, v109, s0
	v_mul_lo_u16 v110, 0x12c, v92
	v_add_co_u32 v120, s0, s8, v106
	v_mul_u32_u24_sdwa v122, v111, v128 dst_sel:DWORD dst_unused:UNUSED_PAD src0_sel:WORD_0 src1_sel:DWORD
	v_add_co_ci_u32_e64 v107, s0, s9, v107, s0
	s_clause 0x3
	global_load_dwordx4 v[76:79], v[78:79], off offset:656
	global_load_dwordx4 v[80:83], v[80:81], off offset:16
	;; [unrolled: 1-line block ×4, first 2 shown]
	v_sub_nc_u16 v106, v103, v110
	v_mov_b32_e32 v121, 5
	v_add_co_u32 v118, s0, 0x1000, v120
	s_clause 0x1
	global_load_dwordx4 v[110:113], v[99:100], off offset:656
	global_load_dwordx4 v[114:117], v[108:109], off offset:16
	v_lshrrev_b32_e32 v99, 21, v122
	v_add_co_ci_u32_e64 v119, s0, 0, v107, s0
	v_add_co_u32 v108, s0, 0x1290, v120
	v_lshlrev_b32_sdwa v100, v121, v106 dst_sel:DWORD dst_unused:UNUSED_PAD src0_sel:DWORD src1_sel:WORD_0
	v_add_co_ci_u32_e64 v109, s0, 0, v107, s0
	v_mul_lo_u16 v107, 0x12c, v99
	v_add_nc_u32_e32 v99, 0x2d0, v174
	v_add_co_u32 v129, s0, s8, v100
	v_add_nc_u32_e32 v100, 0x32a, v174
	v_sub_nc_u16 v107, v104, v107
	v_lshrrev_b16 v120, 2, v99
	v_add_co_ci_u32_e64 v130, null, s9, 0, s0
	v_lshrrev_b16 v132, 2, v100
	v_and_b32_e32 v107, 0xffff, v107
	v_mul_u32_u24_sdwa v131, v120, v128 dst_sel:DWORD dst_unused:UNUSED_PAD src0_sel:WORD_0 src1_sel:DWORD
	s_clause 0x1
	global_load_dwordx4 v[118:121], v[118:119], off offset:656
	global_load_dwordx4 v[122:125], v[108:109], off offset:16
	v_add_co_u32 v126, s0, 0x1000, v129
	v_mul_u32_u24_sdwa v128, v132, v128 dst_sel:DWORD dst_unused:UNUSED_PAD src0_sel:WORD_0 src1_sel:DWORD
	v_lshrrev_b32_e32 v109, 21, v131
	v_lshlrev_b32_e32 v108, 5, v107
	v_add_co_ci_u32_e64 v127, s0, 0, v130, s0
	v_lshrrev_b32_e32 v128, 21, v128
	v_mul_lo_u16 v109, 0x12c, v109
	v_add_co_u32 v134, s0, 0x1290, v129
	v_add_co_ci_u32_e64 v135, s0, 0, v130, s0
	v_add_co_u32 v129, s0, s8, v108
	v_sub_nc_u16 v108, v99, v109
	v_mul_lo_u16 v109, 0x12c, v128
	v_add_co_ci_u32_e64 v132, null, s9, 0, s0
	v_add_co_u32 v130, s0, 0x1000, v129
	v_sub_nc_u16 v109, v100, v109
	v_and_b32_e32 v108, 0xffff, v108
	v_add_co_ci_u32_e64 v131, s0, 0, v132, s0
	v_add_co_u32 v138, s0, 0x1290, v129
	v_and_b32_e32 v109, 0xffff, v109
	v_lshlrev_b32_e32 v140, 5, v108
	v_add_co_ci_u32_e64 v139, s0, 0, v132, s0
	s_clause 0x2
	global_load_dwordx4 v[126:129], v[126:127], off offset:656
	global_load_dwordx4 v[130:133], v[130:131], off offset:656
	;; [unrolled: 1-line block ×3, first 2 shown]
	v_lshlrev_b32_e32 v141, 5, v109
	v_add_co_u32 v150, s0, s8, v140
	v_add_co_ci_u32_e64 v151, null, s9, 0, s0
	v_add_co_u32 v152, s0, s8, v141
	v_add_co_ci_u32_e64 v153, null, s9, 0, s0
	v_add_co_u32 v142, s0, 0x1000, v150
	v_add_co_ci_u32_e64 v143, s0, 0, v151, s0
	v_add_co_u32 v146, s0, 0x1000, v152
	v_add_co_ci_u32_e64 v147, s0, 0, v153, s0
	s_clause 0x2
	global_load_dwordx4 v[138:141], v[138:139], off offset:16
	global_load_dwordx4 v[142:145], v[142:143], off offset:656
	;; [unrolled: 1-line block ×3, first 2 shown]
	v_add_co_u32 v150, s0, 0x1290, v150
	v_add_co_ci_u32_e64 v151, s0, 0, v151, s0
	v_add_co_u32 v154, s0, 0x1290, v152
	v_add_co_ci_u32_e64 v155, s0, 0, v153, s0
	s_clause 0x1
	global_load_dwordx4 v[150:153], v[150:151], off offset:16
	global_load_dwordx4 v[154:157], v[154:155], off offset:16
	ds_read2_b64 v[158:161], v192 offset0:132 offset1:222
	ds_read2_b64 v[162:165], v255 offset0:8 offset1:98
	;; [unrolled: 1-line block ×6, first 2 shown]
	v_cmp_lt_u32_e64 s0, 29, v174
	s_waitcnt vmcnt(19) lgkmcnt(5)
	v_mul_f64 v[170:171], v[158:159], v[74:75]
	v_mul_f64 v[74:75], v[56:57], v[74:75]
	s_waitcnt vmcnt(17)
	v_mul_f64 v[172:173], v[160:161], v[70:71]
	v_mul_f64 v[70:71], v[58:59], v[70:71]
	s_waitcnt lgkmcnt(4)
	v_mul_f64 v[187:188], v[162:163], v[66:67]
	v_mul_f64 v[66:67], v[52:53], v[66:67]
	s_waitcnt vmcnt(16)
	v_mul_f64 v[189:190], v[164:165], v[62:63]
	v_mul_f64 v[62:63], v[54:55], v[62:63]
	v_fma_f64 v[56:57], v[56:57], v[72:73], v[170:171]
	v_fma_f64 v[170:171], v[158:159], v[72:73], -v[74:75]
	v_fma_f64 v[58:59], v[58:59], v[68:69], v[172:173]
	v_fma_f64 v[172:173], v[160:161], v[68:69], -v[70:71]
	;; [unrolled: 2-line block ×3, first 2 shown]
	ds_read2_b64 v[158:161], v204 offset0:160 offset1:250
	v_fma_f64 v[209:210], v[164:165], v[60:61], -v[62:63]
	v_fma_f64 v[54:55], v[54:55], v[60:61], v[189:190]
	ds_read2_b64 v[162:165], v201 offset0:36 offset1:126
	s_waitcnt vmcnt(15) lgkmcnt(5)
	v_mul_f64 v[206:207], v[166:167], v[78:79]
	v_mul_f64 v[72:73], v[48:49], v[78:79]
	s_waitcnt vmcnt(13)
	v_mul_f64 v[74:75], v[168:169], v[86:87]
	v_mul_f64 v[78:79], v[50:51], v[86:87]
	s_waitcnt lgkmcnt(4)
	v_mul_f64 v[68:69], v[175:176], v[82:83]
	v_mul_f64 v[82:83], v[44:45], v[82:83]
	s_waitcnt vmcnt(12)
	v_mul_f64 v[86:87], v[177:178], v[90:91]
	v_mul_f64 v[66:67], v[46:47], v[90:91]
	s_waitcnt vmcnt(11) lgkmcnt(3)
	v_mul_f64 v[90:91], v[179:180], v[112:113]
	v_mul_f64 v[112:113], v[40:41], v[112:113]
	v_fma_f64 v[62:63], v[48:49], v[76:77], v[206:207]
	s_waitcnt vmcnt(10) lgkmcnt(2)
	v_mul_f64 v[48:49], v[183:184], v[116:117]
	v_fma_f64 v[64:65], v[50:51], v[84:85], v[74:75]
	v_fma_f64 v[50:51], v[168:169], v[84:85], -v[78:79]
	v_fma_f64 v[70:71], v[44:45], v[80:81], v[68:69]
	s_waitcnt vmcnt(9)
	v_mul_f64 v[189:190], v[181:182], v[120:121]
	s_waitcnt vmcnt(8)
	v_mul_f64 v[206:207], v[185:186], v[124:125]
	v_mul_f64 v[120:121], v[42:43], v[120:121]
	;; [unrolled: 1-line block ×3, first 2 shown]
	v_fma_f64 v[68:69], v[175:176], v[80:81], -v[82:83]
	v_mul_f64 v[116:117], v[36:37], v[116:117]
	v_fma_f64 v[74:75], v[40:41], v[110:111], v[90:91]
	v_fma_f64 v[80:81], v[179:180], v[110:111], -v[112:113]
	v_fma_f64 v[166:167], v[166:167], v[76:77], -v[72:73]
	v_fma_f64 v[72:73], v[46:47], v[88:89], v[86:87]
	ds_read2_b64 v[44:47], v202 offset0:84 offset1:174
	v_fma_f64 v[60:61], v[177:178], v[88:89], -v[66:67]
	v_lshl_add_u32 v177, v107, 3, 0
	v_lshl_add_u32 v178, v108, 3, 0
	;; [unrolled: 1-line block ×3, first 2 shown]
	v_fma_f64 v[78:79], v[36:37], v[114:115], v[48:49]
	v_add_f64 v[36:37], v[56:57], v[52:53]
	v_fma_f64 v[76:77], v[42:43], v[118:119], v[189:190]
	ds_read2_b64 v[40:43], v205 offset0:88 offset1:178
	v_fma_f64 v[84:85], v[38:39], v[122:123], v[206:207]
	v_add_f64 v[38:39], v[58:59], v[54:55]
	v_fma_f64 v[82:83], v[181:182], v[118:119], -v[120:121]
	v_fma_f64 v[86:87], v[185:186], v[122:123], -v[124:125]
	;; [unrolled: 1-line block ×3, first 2 shown]
	s_waitcnt vmcnt(7) lgkmcnt(3)
	v_mul_f64 v[168:169], v[158:159], v[128:129]
	v_mul_f64 v[128:129], v[24:25], v[128:129]
	s_waitcnt vmcnt(6)
	v_mul_f64 v[175:176], v[160:161], v[132:133]
	v_mul_f64 v[110:111], v[26:27], v[132:133]
	s_waitcnt vmcnt(5) lgkmcnt(2)
	v_mul_f64 v[112:113], v[162:163], v[136:137]
	v_mul_f64 v[118:119], v[20:21], v[136:137]
	v_add_f64 v[136:137], v[170:171], -v[187:188]
	v_fma_f64 v[36:37], v[36:37], -0.5, v[16:17]
	v_fma_f64 v[38:39], v[38:39], -0.5, v[18:19]
	s_waitcnt vmcnt(4)
	v_mul_f64 v[48:49], v[164:165], v[140:141]
	s_waitcnt vmcnt(3)
	v_mul_f64 v[116:117], v[32:33], v[144:145]
	s_waitcnt vmcnt(2) lgkmcnt(1)
	v_mul_f64 v[120:121], v[46:47], v[148:149]
	v_fma_f64 v[88:89], v[24:25], v[126:127], v[168:169]
	v_fma_f64 v[90:91], v[158:159], v[126:127], -v[128:129]
	v_add_f64 v[24:25], v[62:63], v[70:71]
	v_fma_f64 v[122:123], v[26:27], v[130:131], v[175:176]
	v_mul_f64 v[26:27], v[44:45], v[144:145]
	v_add_f64 v[126:127], v[16:17], v[56:57]
	v_add_f64 v[128:129], v[18:19], v[58:59]
	v_fma_f64 v[130:131], v[160:161], v[130:131], -v[110:111]
	v_fma_f64 v[132:133], v[20:21], v[134:135], v[112:113]
	s_waitcnt vmcnt(1) lgkmcnt(0)
	v_mul_f64 v[20:21], v[40:41], v[152:153]
	v_mul_f64 v[110:111], v[28:29], v[152:153]
	;; [unrolled: 1-line block ×4, first 2 shown]
	s_waitcnt vmcnt(0)
	v_mul_f64 v[112:113], v[42:43], v[156:157]
	v_add_f64 v[140:141], v[172:173], -v[209:210]
	v_fma_f64 v[134:135], v[162:163], v[134:135], -v[118:119]
	v_mul_f64 v[118:119], v[30:31], v[156:157]
	ds_read2_b64 v[16:19], v193 offset1:90
	v_add_f64 v[156:157], v[76:77], v[84:85]
	v_fma_f64 v[144:145], v[22:23], v[138:139], v[48:49]
	v_add_f64 v[48:49], v[12:13], v[62:63]
	v_fma_f64 v[152:153], v[34:35], v[146:147], v[120:121]
	v_add_f64 v[34:35], v[64:65], v[72:73]
	v_add_f64 v[107:108], v[80:81], v[66:67]
	v_fma_f64 v[12:13], v[24:25], -0.5, v[12:13]
	v_add_f64 v[24:25], v[166:167], -v[68:69]
	v_fma_f64 v[148:149], v[32:33], v[142:143], v[26:27]
	v_add_f64 v[26:27], v[126:127], v[52:53]
	v_add_f64 v[32:33], v[128:129], v[54:55]
	v_fma_f64 v[142:143], v[44:45], v[142:143], -v[116:117]
	v_add_f64 v[44:45], v[170:171], v[187:188]
	v_fma_f64 v[126:127], v[28:29], v[150:151], v[20:21]
	v_fma_f64 v[128:129], v[40:41], v[150:151], -v[110:111]
	ds_read2_b64 v[20:23], v194 offset0:52 offset1:142
	v_fma_f64 v[124:125], v[46:47], v[146:147], -v[124:125]
	v_fma_f64 v[146:147], v[30:31], v[154:155], v[112:113]
	v_fma_f64 v[28:29], v[136:137], s[6:7], v[36:37]
	;; [unrolled: 1-line block ×3, first 2 shown]
	v_fma_f64 v[138:139], v[164:165], v[138:139], -v[114:115]
	v_add_f64 v[46:47], v[172:173], v[209:210]
	v_fma_f64 v[150:151], v[42:43], v[154:155], -v[118:119]
	v_fma_f64 v[36:37], v[136:137], s[4:5], v[36:37]
	v_add_f64 v[40:41], v[48:49], v[70:71]
	v_add_f64 v[48:49], v[166:167], v[68:69]
	ds_read2_b64 v[110:113], v200 offset0:104 offset1:194
	v_fma_f64 v[38:39], v[140:141], s[4:5], v[38:39]
	ds_read2_b64 v[114:117], v197 offset0:28 offset1:118
	ds_read2_b64 v[118:121], v199 offset0:80 offset1:170
	v_fma_f64 v[42:43], v[24:25], s[4:5], v[12:13]
	s_waitcnt lgkmcnt(0)
	s_barrier
	v_fma_f64 v[34:35], v[34:35], -0.5, v[14:15]
	v_add_f64 v[154:155], v[74:75], v[78:79]
	buffer_gl0_inv
	ds_write2_b64 v193, v[26:27], v[32:33] offset1:90
	v_add_f64 v[14:15], v[14:15], v[64:65]
	v_add_f64 v[26:27], v[88:89], v[132:133]
	v_fma_f64 v[12:13], v[24:25], s[6:7], v[12:13]
	v_add_f64 v[24:25], v[122:123], v[144:145]
	v_add_f64 v[136:137], v[50:51], v[60:61]
	v_add_f64 v[140:141], v[50:51], -v[60:61]
	v_add_f64 v[162:163], v[20:21], v[166:167]
	ds_write2_b64 v197, v[28:29], v[30:31] offset0:88 offset1:178
	v_add_f64 v[28:29], v[152:153], v[146:147]
	v_fma_f64 v[158:159], v[44:45], -0.5, v[16:17]
	v_fma_f64 v[160:161], v[46:47], -0.5, v[18:19]
	v_fma_f64 v[164:165], v[48:49], -0.5, v[20:21]
	v_add_f64 v[20:21], v[148:149], v[126:127]
	v_add_f64 v[16:17], v[16:17], v[170:171]
	;; [unrolled: 1-line block ×3, first 2 shown]
	ds_write2_b64 v194, v[40:41], v[36:37] offset0:52 offset1:172
	ds_write2_b64 v200, v[38:39], v[42:43] offset0:134 offset1:224
	v_fma_f64 v[32:33], v[156:157], -0.5, v[2:3]
	v_add_f64 v[36:37], v[80:81], -v[66:67]
	v_fma_f64 v[30:31], v[154:155], -0.5, v[0:1]
	v_add_f64 v[38:39], v[82:83], -v[86:87]
	v_add_f64 v[40:41], v[90:91], -v[134:135]
	v_add_f64 v[14:15], v[14:15], v[72:73]
	v_fma_f64 v[26:27], v[26:27], -0.5, v[4:5]
	v_add_f64 v[4:5], v[4:5], v[88:89]
	v_fma_f64 v[24:25], v[24:25], -0.5, v[6:7]
	v_add_f64 v[42:43], v[130:131], -v[138:139]
	v_add_f64 v[6:7], v[6:7], v[122:123]
	v_fma_f64 v[136:137], v[136:137], -0.5, v[22:23]
	v_add_f64 v[166:167], v[22:23], v[50:51]
	v_fma_f64 v[22:23], v[140:141], s[4:5], v[34:35]
	v_add_f64 v[0:1], v[0:1], v[74:75]
	v_add_f64 v[2:3], v[2:3], v[76:77]
	v_add_f64 v[44:45], v[142:143], -v[128:129]
	v_fma_f64 v[20:21], v[20:21], -0.5, v[8:9]
	v_add_f64 v[8:9], v[8:9], v[148:149]
	v_fma_f64 v[28:29], v[28:29], -0.5, v[10:11]
	v_add_f64 v[10:11], v[10:11], v[152:153]
	v_add_f64 v[46:47], v[124:125], -v[150:151]
	v_lshlrev_b32_e32 v48, 3, v105
	v_cndmask_b32_e64 v49, 0, 0x1c20, s0
	v_fma_f64 v[34:35], v[140:141], s[6:7], v[34:35]
	ds_write_b64 v193, v[12:13] offset:6240
	v_fma_f64 v[12:13], v[36:37], s[4:5], v[30:31]
	v_fma_f64 v[30:31], v[36:37], s[6:7], v[30:31]
	v_add3_u32 v175, 0, v49, v48
	v_fma_f64 v[48:49], v[38:39], s[4:5], v[32:33]
	v_fma_f64 v[32:33], v[38:39], s[6:7], v[32:33]
	ds_write_b64 v175, v[14:15]
	ds_write_b64 v175, v[22:23] offset:2400
	v_add_f64 v[4:5], v[4:5], v[132:133]
	v_fma_f64 v[14:15], v[40:41], s[4:5], v[26:27]
	v_fma_f64 v[22:23], v[40:41], s[6:7], v[26:27]
	;; [unrolled: 1-line block ×3, first 2 shown]
	v_add_f64 v[6:7], v[6:7], v[144:145]
	v_fma_f64 v[24:25], v[42:43], s[6:7], v[24:25]
	v_lshlrev_b32_sdwa v40, v208, v106 dst_sel:DWORD dst_unused:UNUSED_PAD src0_sel:DWORD src1_sel:WORD_0
	v_add_f64 v[105:106], v[16:17], v[187:188]
	v_add_f64 v[140:141], v[18:19], v[209:210]
	;; [unrolled: 1-line block ×5, first 2 shown]
	v_fma_f64 v[36:37], v[44:45], s[4:5], v[20:21]
	v_fma_f64 v[20:21], v[44:45], s[6:7], v[20:21]
	v_add_f64 v[10:11], v[10:11], v[146:147]
	v_fma_f64 v[38:39], v[46:47], s[4:5], v[28:29]
	v_fma_f64 v[28:29], v[46:47], s[6:7], v[28:29]
	v_mul_u32_u24_e32 v41, 0x1c20, v92
	v_add_f64 v[154:155], v[82:83], v[86:87]
	v_add_f64 v[170:171], v[90:91], v[134:135]
	v_add_nc_u32_e32 v176, 0x1c00, v193
	v_add_f64 v[172:173], v[130:131], v[138:139]
	v_add3_u32 v92, 0, v41, v40
	ds_write_b64 v175, v[34:35] offset:4800
	ds_write2_b64 v176, v[0:1], v[2:3] offset0:64 offset1:154
	ds_write2_b64 v196, v[12:13], v[48:49] offset0:108 offset1:198
	;; [unrolled: 1-line block ×3, first 2 shown]
	ds_write_b64 v92, v[4:5]
	ds_write_b64 v92, v[14:15] offset:2400
	ds_write_b64 v92, v[22:23] offset:4800
	;; [unrolled: 1-line block ×11, first 2 shown]
	s_waitcnt lgkmcnt(0)
	s_barrier
	buffer_gl0_inv
	ds_read2_b64 v[12:15], v193 offset1:90
	ds_read2_b64 v[40:43], v192 offset0:132 offset1:222
	ds_read2_b64 v[44:47], v255 offset0:8 offset1:98
	;; [unrolled: 1-line block ×7, first 2 shown]
	v_add_f64 v[156:157], v[56:57], -v[52:53]
	ds_read2_b64 v[32:35], v198 offset0:112 offset1:202
	ds_read2_b64 v[8:11], v197 offset0:28 offset1:118
	;; [unrolled: 1-line block ×3, first 2 shown]
	v_add_f64 v[168:169], v[58:59], -v[54:55]
	ds_read2_b64 v[48:51], v201 offset0:36 offset1:126
	ds_read2_b64 v[24:27], v199 offset0:80 offset1:170
	;; [unrolled: 1-line block ×4, first 2 shown]
	s_waitcnt lgkmcnt(0)
	s_barrier
	buffer_gl0_inv
	ds_write2_b64 v193, v[105:106], v[140:141] offset1:90
	v_add_f64 v[105:106], v[142:143], v[128:129]
	v_add_f64 v[140:141], v[124:125], v[150:151]
	v_add_f64 v[62:63], v[62:63], -v[70:71]
	v_add_f64 v[64:65], v[64:65], -v[72:73]
	v_add_f64 v[80:81], v[110:111], v[80:81]
	v_add_f64 v[82:83], v[112:113], v[82:83]
	v_fma_f64 v[107:108], v[107:108], -0.5, v[110:111]
	v_fma_f64 v[70:71], v[154:155], -0.5, v[112:113]
	v_add_f64 v[74:75], v[74:75], -v[78:79]
	v_add_f64 v[76:77], v[76:77], -v[84:85]
	;; [unrolled: 1-line block ×3, first 2 shown]
	v_add_f64 v[88:89], v[114:115], v[90:91]
	v_fma_f64 v[90:91], v[170:171], -0.5, v[114:115]
	v_add_f64 v[113:114], v[116:117], v[130:131]
	v_fma_f64 v[115:116], v[172:173], -0.5, v[116:117]
	v_add_f64 v[122:123], v[122:123], -v[144:145]
	v_add_f64 v[130:131], v[118:119], v[142:143]
	v_add_f64 v[124:125], v[120:121], v[124:125]
	v_fma_f64 v[109:110], v[156:157], s[4:5], v[158:159]
	v_fma_f64 v[111:112], v[168:169], s[4:5], v[160:161]
	;; [unrolled: 1-line block ×3, first 2 shown]
	v_add_f64 v[68:69], v[162:163], v[68:69]
	v_fma_f64 v[105:106], v[105:106], -0.5, v[118:119]
	v_add_f64 v[117:118], v[148:149], -v[126:127]
	v_fma_f64 v[119:120], v[140:141], -0.5, v[120:121]
	v_add_f64 v[126:127], v[152:153], -v[146:147]
	v_fma_f64 v[78:79], v[168:169], s[6:7], v[160:161]
	v_fma_f64 v[132:133], v[62:63], s[6:7], v[164:165]
	;; [unrolled: 1-line block ×3, first 2 shown]
	v_add_f64 v[60:61], v[166:167], v[60:61]
	v_fma_f64 v[140:141], v[64:65], s[6:7], v[136:137]
	v_fma_f64 v[64:65], v[64:65], s[4:5], v[136:137]
	v_add_f64 v[66:67], v[80:81], v[66:67]
	v_add_f64 v[80:81], v[82:83], v[86:87]
	v_fma_f64 v[82:83], v[74:75], s[6:7], v[107:108]
	v_fma_f64 v[86:87], v[76:77], s[6:7], v[70:71]
	v_fma_f64 v[74:75], v[74:75], s[4:5], v[107:108]
	v_fma_f64 v[70:71], v[76:77], s[4:5], v[70:71]
	v_add_f64 v[76:77], v[88:89], v[134:135]
	v_fma_f64 v[88:89], v[84:85], s[6:7], v[90:91]
	v_fma_f64 v[84:85], v[84:85], s[4:5], v[90:91]
	v_add_f64 v[90:91], v[113:114], v[138:139]
	v_fma_f64 v[107:108], v[122:123], s[6:7], v[115:116]
	v_fma_f64 v[113:114], v[122:123], s[4:5], v[115:116]
	;; [unrolled: 3-line block ×4, first 2 shown]
	ds_write2_b64 v197, v[109:110], v[111:112] offset0:88 offset1:178
	ds_write2_b64 v194, v[68:69], v[72:73] offset0:52 offset1:172
	ds_write2_b64 v200, v[78:79], v[132:133] offset0:134 offset1:224
	ds_write_b64 v193, v[62:63] offset:6240
	ds_write_b64 v175, v[60:61]
	ds_write_b64 v175, v[140:141] offset:2400
	ds_write_b64 v175, v[64:65] offset:4800
	ds_write2_b64 v176, v[66:67], v[80:81] offset0:64 offset1:154
	ds_write2_b64 v196, v[82:83], v[86:87] offset0:108 offset1:198
	ds_write2_b64 v202, v[74:75], v[70:71] offset0:24 offset1:114
	ds_write_b64 v92, v[76:77]
	ds_write_b64 v92, v[88:89] offset:2400
	ds_write_b64 v92, v[84:85] offset:4800
	;; [unrolled: 1-line block ×11, first 2 shown]
	s_waitcnt lgkmcnt(0)
	s_barrier
	buffer_gl0_inv
	s_and_saveexec_b32 s0, vcc_lo
	s_cbranch_execz .LBB0_13
; %bb.12:
	v_lshlrev_b32_e32 v92, 1, v100
	v_add_nc_u32_e32 v105, 0x1c2, v174
	v_mov_b32_e32 v175, v93
	v_lshlrev_b64 v[60:61], 4, v[92:93]
	v_lshlrev_b32_e32 v92, 1, v99
	v_lshlrev_b64 v[170:171], 4, v[174:175]
	v_mul_hi_u32 v172, 0x91a2b3c5, v105
	v_add_co_u32 v64, vcc_lo, s8, v60
	v_add_co_ci_u32_e32 v65, vcc_lo, s9, v61, vcc_lo
	v_lshlrev_b64 v[60:61], 4, v[92:93]
	v_add_co_u32 v62, vcc_lo, 0x3810, v64
	v_add_co_ci_u32_e32 v63, vcc_lo, 0, v65, vcc_lo
	v_lshlrev_b32_e32 v92, 1, v104
	v_add_co_u32 v66, vcc_lo, s8, v60
	v_add_co_ci_u32_e32 v67, vcc_lo, s9, v61, vcc_lo
	v_add_co_u32 v60, vcc_lo, 0x3800, v64
	v_add_co_ci_u32_e32 v61, vcc_lo, 0, v65, vcc_lo
	v_add_co_u32 v64, vcc_lo, 0x3800, v66
	v_lshlrev_b64 v[76:77], 4, v[92:93]
	v_add_co_ci_u32_e32 v65, vcc_lo, 0, v67, vcc_lo
	v_add_co_u32 v66, vcc_lo, 0x3810, v66
	v_add_co_ci_u32_e32 v67, vcc_lo, 0, v67, vcc_lo
	v_add_co_u32 v90, vcc_lo, s8, v76
	;; [unrolled: 2-line block ×7, first 2 shown]
	v_lshlrev_b32_e32 v92, 1, v103
	v_add_co_ci_u32_e32 v89, vcc_lo, 0, v98, vcc_lo
	v_add_co_u32 v90, vcc_lo, 0x3800, v90
	v_add_co_ci_u32_e32 v91, vcc_lo, 0, v91, vcc_lo
	s_clause 0x5
	global_load_dwordx4 v[72:75], v[60:61], off offset:16
	global_load_dwordx4 v[68:71], v[62:63], off offset:16
	global_load_dwordx4 v[60:63], v[64:65], off offset:16
	global_load_dwordx4 v[64:67], v[66:67], off offset:16
	global_load_dwordx4 v[76:79], v[76:77], off offset:16
	global_load_dwordx4 v[80:83], v[80:81], off offset:16
	v_lshlrev_b64 v[97:98], 4, v[92:93]
	s_clause 0x1
	global_load_dwordx4 v[101:104], v[88:89], off offset:16
	global_load_dwordx4 v[106:109], v[86:87], off offset:16
	v_add_co_u32 v86, vcc_lo, 0x3800, v94
	v_add_co_ci_u32_e32 v87, vcc_lo, 0, v95, vcc_lo
	v_add_co_u32 v88, vcc_lo, 0x3810, v94
	v_add_co_ci_u32_e32 v89, vcc_lo, 0, v95, vcc_lo
	;; [unrolled: 2-line block ×3, first 2 shown]
	s_clause 0x1
	global_load_dwordx4 v[110:113], v[86:87], off offset:16
	global_load_dwordx4 v[114:117], v[88:89], off offset:16
	v_add_co_u32 v86, vcc_lo, 0x3800, v94
	v_lshlrev_b32_e32 v92, 1, v105
	v_add_co_ci_u32_e32 v87, vcc_lo, 0, v95, vcc_lo
	v_add_co_u32 v88, vcc_lo, 0x3810, v94
	v_add_co_ci_u32_e32 v89, vcc_lo, 0, v95, vcc_lo
	v_lshlrev_b64 v[94:95], 4, v[92:93]
	s_clause 0x3
	global_load_dwordx4 v[118:121], v[90:91], off offset:16
	global_load_dwordx4 v[122:125], v[84:85], off offset:16
	;; [unrolled: 1-line block ×4, first 2 shown]
	v_lshl_add_u32 v92, v174, 1, 0x2d0
	v_mul_hi_u32 v98, 0x91a2b3c5, v100
	v_add_co_u32 v88, vcc_lo, s8, v94
	v_add_co_ci_u32_e32 v89, vcc_lo, s9, v95, vcc_lo
	v_lshlrev_b64 v[86:87], 4, v[92:93]
	v_add_co_u32 v84, vcc_lo, 0x3810, v88
	v_add_co_ci_u32_e32 v85, vcc_lo, 0, v89, vcc_lo
	v_add_co_u32 v88, vcc_lo, 0x3800, v88
	v_add_co_ci_u32_e32 v89, vcc_lo, 0, v89, vcc_lo
	;; [unrolled: 2-line block ×3, first 2 shown]
	s_clause 0x1
	global_load_dwordx4 v[134:137], v[88:89], off offset:16
	global_load_dwordx4 v[138:141], v[84:85], off offset:16
	v_add_co_u32 v84, vcc_lo, 0x3800, v86
	v_add_co_ci_u32_e32 v85, vcc_lo, 0, v87, vcc_lo
	v_add_co_u32 v86, vcc_lo, 0x3810, v86
	v_lshlrev_b32_e32 v92, 1, v96
	v_add_co_ci_u32_e32 v87, vcc_lo, 0, v87, vcc_lo
	s_clause 0x1
	global_load_dwordx4 v[142:145], v[84:85], off offset:16
	global_load_dwordx4 v[146:149], v[86:87], off offset:16
	v_lshlrev_b64 v[84:85], 4, v[92:93]
	v_mul_hi_u32 v92, 0x91a2b3c5, v99
	v_lshrrev_b32_e32 v236, 9, v98
	v_add_co_u32 v86, vcc_lo, s8, v84
	v_add_co_ci_u32_e32 v87, vcc_lo, s9, v85, vcc_lo
	v_lshrrev_b32_e32 v230, 9, v92
	v_add_co_u32 v84, vcc_lo, 0x3800, v86
	v_add_co_ci_u32_e32 v85, vcc_lo, 0, v87, vcc_lo
	v_add_co_u32 v86, vcc_lo, 0x3810, v86
	v_add_co_ci_u32_e32 v87, vcc_lo, 0, v87, vcc_lo
	s_clause 0x1
	global_load_dwordx4 v[94:97], v[84:85], off offset:16
	global_load_dwordx4 v[150:153], v[86:87], off offset:16
	ds_read2_b64 v[154:157], v199 offset0:80 offset1:170
	ds_read2_b64 v[158:161], v202 offset0:84 offset1:174
	;; [unrolled: 1-line block ×12, first 2 shown]
	ds_read2_b64 v[208:211], v193 offset1:90
	ds_read2_b64 v[192:195], v192 offset0:132 offset1:222
	ds_read2_b64 v[188:191], v255 offset0:8 offset1:98
	s_clause 0x1
	buffer_load_dword v173, off, s[24:27], 0
	buffer_load_dword v174, off, s[24:27], 0 offset:4
	v_lshrrev_b32_e32 v92, 9, v172
	v_mad_u32_u24 v92, 0x708, v92, v105
	v_lshlrev_b64 v[228:229], 4, v[92:93]
	v_mad_u32_u24 v92, 0x708, v230, v99
	v_lshlrev_b64 v[234:235], 4, v[92:93]
	v_mad_u32_u24 v92, 0x708, v236, v100
	s_waitcnt vmcnt(17)
	v_mul_f64 v[98:99], v[16:17], v[78:79]
	s_waitcnt vmcnt(16)
	v_mul_f64 v[230:231], v[20:21], v[82:83]
	s_waitcnt lgkmcnt(4)
	v_mul_f64 v[78:79], v[204:205], v[78:79]
	s_waitcnt lgkmcnt(3)
	v_mul_f64 v[82:83], v[200:201], v[82:83]
	s_waitcnt vmcnt(15)
	v_mul_f64 v[236:237], v[42:43], v[103:104]
	s_waitcnt lgkmcnt(1)
	v_mul_f64 v[103:104], v[194:195], v[103:104]
	s_waitcnt vmcnt(14)
	;; [unrolled: 4-line block ×3, first 2 shown]
	v_mul_f64 v[242:243], v[40:41], v[112:113]
	v_fma_f64 v[98:99], v[76:77], v[204:205], -v[98:99]
	v_fma_f64 v[16:17], v[16:17], v[76:77], v[78:79]
	s_waitcnt vmcnt(12)
	v_mul_f64 v[76:77], v[44:45], v[116:117]
	v_mul_f64 v[78:79], v[192:193], v[112:113]
	v_fma_f64 v[112:113], v[80:81], v[200:201], -v[230:231]
	v_fma_f64 v[20:21], v[20:21], v[80:81], v[82:83]
	v_mul_f64 v[80:81], v[188:189], v[116:117]
	v_fma_f64 v[82:83], v[101:102], v[194:195], -v[236:237]
	v_fma_f64 v[42:43], v[42:43], v[101:102], v[103:104]
	v_mul_f64 v[100:101], v[54:55], v[74:75]
	v_mul_f64 v[74:75], v[160:161], v[74:75]
	;; [unrolled: 1-line block ×4, first 2 shown]
	v_fma_f64 v[102:103], v[106:107], v[190:191], -v[240:241]
	v_fma_f64 v[46:47], v[46:47], v[106:107], v[108:109]
	v_fma_f64 v[106:107], v[110:111], v[192:193], -v[242:243]
	v_mul_f64 v[108:109], v[52:53], v[62:63]
	v_mul_f64 v[190:191], v[56:57], v[66:67]
	;; [unrolled: 1-line block ×4, first 2 shown]
	v_fma_f64 v[76:77], v[114:115], v[188:189], -v[76:77]
	v_fma_f64 v[40:41], v[40:41], v[110:111], v[78:79]
	s_waitcnt vmcnt(11)
	v_mul_f64 v[78:79], v[38:39], v[120:121]
	v_mul_f64 v[110:111], v[178:179], v[120:121]
	v_fma_f64 v[44:45], v[44:45], v[114:115], v[80:81]
	s_waitcnt vmcnt(10)
	v_mul_f64 v[114:115], v[182:183], v[124:125]
	s_waitcnt vmcnt(9)
	v_mul_f64 v[120:121], v[36:37], v[128:129]
	v_mul_f64 v[80:81], v[50:51], v[124:125]
	s_waitcnt vmcnt(8)
	v_mul_f64 v[124:125], v[48:49], v[132:133]
	v_mul_f64 v[128:129], v[176:177], v[128:129]
	;; [unrolled: 1-line block ×3, first 2 shown]
	v_fma_f64 v[100:101], v[72:73], v[160:161], -v[100:101]
	v_fma_f64 v[54:55], v[54:55], v[72:73], v[74:75]
	s_waitcnt vmcnt(7)
	v_mul_f64 v[72:73], v[30:31], v[136:137]
	s_waitcnt vmcnt(6)
	v_mul_f64 v[74:75], v[34:35], v[140:141]
	v_fma_f64 v[104:105], v[68:69], v[164:165], -v[104:105]
	v_fma_f64 v[58:59], v[58:59], v[68:69], v[70:71]
	v_mul_f64 v[68:69], v[186:187], v[136:137]
	v_mul_f64 v[70:71], v[198:199], v[140:141]
	s_waitcnt vmcnt(5)
	v_mul_f64 v[136:137], v[28:29], v[144:145]
	s_waitcnt vmcnt(4)
	v_mul_f64 v[140:141], v[32:33], v[148:149]
	v_mul_f64 v[144:145], v[184:185], v[144:145]
	;; [unrolled: 1-line block ×3, first 2 shown]
	v_fma_f64 v[108:109], v[60:61], v[158:159], -v[108:109]
	v_fma_f64 v[52:53], v[52:53], v[60:61], v[62:63]
	v_fma_f64 v[56:57], v[56:57], v[64:65], v[66:67]
	v_add_f64 v[60:61], v[98:99], v[112:113]
	v_add_f64 v[62:63], v[16:17], -v[20:21]
	v_add_f64 v[66:67], v[16:17], v[20:21]
	v_add_f64 v[16:17], v[0:1], v[16:17]
	;; [unrolled: 1-line block ×3, first 2 shown]
	v_fma_f64 v[78:79], v[118:119], v[178:179], -v[78:79]
	v_fma_f64 v[114:115], v[50:51], v[122:123], v[114:115]
	v_add_f64 v[50:51], v[208:209], v[106:107]
	v_fma_f64 v[120:121], v[126:127], v[176:177], -v[120:121]
	v_add_f64 v[188:189], v[42:43], v[46:47]
	s_waitcnt vmcnt(3)
	v_mul_f64 v[176:177], v[18:19], v[96:97]
	s_waitcnt vmcnt(2)
	v_mul_f64 v[178:179], v[22:23], v[152:153]
	v_mul_f64 v[96:97], v[206:207], v[96:97]
	v_mul_f64 v[152:153], v[202:203], v[152:153]
	v_fma_f64 v[38:39], v[38:39], v[118:119], v[110:111]
	v_add_f64 v[110:111], v[106:107], v[76:77]
	v_fma_f64 v[158:159], v[64:65], v[162:163], -v[190:191]
	v_add_f64 v[64:65], v[84:85], v[98:99]
	v_add_f64 v[160:161], v[82:83], v[102:103]
	v_fma_f64 v[124:125], v[130:131], v[180:181], -v[124:125]
	v_fma_f64 v[36:37], v[36:37], v[126:127], v[128:129]
	v_fma_f64 v[126:127], v[48:49], v[130:131], v[132:133]
	v_fma_f64 v[48:49], v[134:135], v[186:187], -v[72:73]
	v_fma_f64 v[72:73], v[138:139], v[198:199], -v[74:75]
	v_fma_f64 v[68:69], v[30:31], v[134:135], v[68:69]
	v_fma_f64 v[70:71], v[34:35], v[138:139], v[70:71]
	v_add_f64 v[130:131], v[156:157], v[100:101]
	v_fma_f64 v[134:135], v[142:143], v[184:185], -v[136:137]
	v_fma_f64 v[136:137], v[146:147], v[196:197], -v[140:141]
	v_fma_f64 v[138:139], v[28:29], v[142:143], v[144:145]
	v_fma_f64 v[140:141], v[32:33], v[146:147], v[148:149]
	v_add_f64 v[98:99], v[98:99], -v[112:113]
	v_add_f64 v[162:163], v[42:43], -v[46:47]
	;; [unrolled: 1-line block ×3, first 2 shown]
	v_add_f64 v[42:43], v[14:15], v[42:43]
	v_add_f64 v[118:119], v[40:41], -v[44:45]
	v_fma_f64 v[80:81], v[122:123], v[182:183], -v[80:81]
	v_add_f64 v[122:123], v[40:41], v[44:45]
	v_add_f64 v[106:107], v[106:107], -v[76:77]
	v_add_f64 v[40:41], v[12:13], v[40:41]
	v_fma_f64 v[60:61], v[60:61], -0.5, v[84:85]
	v_fma_f64 v[0:1], v[66:67], -0.5, v[0:1]
	v_add_f64 v[28:29], v[16:17], v[20:21]
	v_add_f64 v[16:17], v[164:165], v[102:103]
	;; [unrolled: 1-line block ×3, first 2 shown]
	v_fma_f64 v[76:77], v[94:95], v[206:207], -v[176:177]
	v_fma_f64 v[102:103], v[150:151], v[202:203], -v[178:179]
	v_fma_f64 v[94:95], v[18:19], v[94:95], v[96:97]
	v_fma_f64 v[22:23], v[22:23], v[150:151], v[152:153]
	v_add_f64 v[74:75], v[100:101], v[104:105]
	v_add_f64 v[132:133], v[54:55], v[58:59]
	v_add_f64 v[128:129], v[54:55], -v[58:59]
	v_add_f64 v[54:55], v[26:27], v[54:55]
	v_fma_f64 v[66:67], v[188:189], -0.5, v[14:15]
	v_fma_f64 v[84:85], v[110:111], -0.5, v[208:209]
	v_add_f64 v[30:31], v[64:65], v[112:113]
	v_fma_f64 v[64:65], v[160:161], -0.5, v[210:211]
	v_add_f64 v[20:21], v[130:131], v[104:105]
	v_add_f64 v[130:131], v[134:135], v[136:137]
	;; [unrolled: 1-line block ×3, first 2 shown]
	s_waitcnt vmcnt(1)
	v_add_co_u32 v244, vcc_lo, s2, v173
	v_add_f64 v[142:143], v[108:109], v[158:159]
	v_add_f64 v[144:145], v[52:53], -v[56:57]
	v_add_f64 v[146:147], v[154:155], v[108:109]
	v_add_f64 v[148:149], v[52:53], v[56:57]
	v_add_f64 v[180:181], v[108:109], -v[158:159]
	v_add_f64 v[52:53], v[24:25], v[52:53]
	v_add_f64 v[14:15], v[42:43], v[46:47]
	v_fma_f64 v[12:13], v[122:123], -0.5, v[12:13]
	v_add_f64 v[32:33], v[40:41], v[44:45]
	v_add_f64 v[96:97], v[78:79], v[80:81]
	v_add_f64 v[110:111], v[38:39], -v[114:115]
	v_add_f64 v[108:109], v[168:169], v[78:79]
	v_add_f64 v[112:113], v[38:39], v[114:115]
	v_add_f64 v[122:123], v[78:79], -v[80:81]
	v_add_f64 v[78:79], v[10:11], v[38:39]
	v_add_f64 v[152:153], v[36:37], -v[126:127]
	v_add_f64 v[164:165], v[36:37], v[126:127]
	v_add_f64 v[176:177], v[8:9], v[36:37]
	v_fma_f64 v[38:39], v[62:63], s[4:5], v[60:61]
	v_fma_f64 v[42:43], v[62:63], s[6:7], v[60:61]
	;; [unrolled: 1-line block ×4, first 2 shown]
	v_add_f64 v[0:1], v[76:77], v[102:103]
	v_add_f64 v[60:61], v[94:95], v[22:23]
	s_waitcnt vmcnt(0)
	v_add_co_ci_u32_e32 v245, vcc_lo, s3, v174, vcc_lo
	v_add_f64 v[178:179], v[48:49], v[72:73]
	v_add_f64 v[184:185], v[90:91], v[48:49]
	;; [unrolled: 1-line block ×3, first 2 shown]
	v_add_co_u32 v170, vcc_lo, v244, v170
	v_add_co_ci_u32_e32 v171, vcc_lo, v245, v171, vcc_lo
	v_add_f64 v[150:151], v[120:121], v[124:125]
	v_add_co_u32 v172, vcc_lo, 0x3800, v170
	v_add_co_ci_u32_e32 v173, vcc_lo, 0, v171, vcc_lo
	v_add_co_u32 v174, vcc_lo, 0x7000, v170
	v_add_co_ci_u32_e32 v175, vcc_lo, 0, v171, vcc_lo
	;; [unrolled: 2-line block ×3, first 2 shown]
	v_add_co_u32 v214, vcc_lo, 0x4000, v170
	v_add_f64 v[100:101], v[100:101], -v[104:105]
	v_fma_f64 v[74:75], v[74:75], -0.5, v[156:157]
	v_fma_f64 v[104:105], v[132:133], -0.5, v[26:27]
	v_add_f64 v[132:133], v[138:139], -v[140:141]
	v_add_f64 v[156:157], v[88:89], v[134:135]
	v_add_f64 v[138:139], v[4:5], v[138:139]
	v_add_f64 v[182:183], v[68:69], -v[70:71]
	v_add_f64 v[188:189], v[48:49], -v[72:73]
	v_add_f64 v[68:69], v[6:7], v[68:69]
	v_add_f64 v[18:19], v[54:55], v[58:59]
	v_fma_f64 v[44:45], v[82:83], s[6:7], v[66:67]
	v_fma_f64 v[48:49], v[82:83], s[4:5], v[66:67]
	;; [unrolled: 1-line block ×4, first 2 shown]
	v_add_f64 v[82:83], v[86:87], v[76:77]
	v_add_f64 v[84:85], v[2:3], v[94:95]
	v_add_co_ci_u32_e32 v215, vcc_lo, 0, v171, vcc_lo
	v_add_f64 v[134:135], v[134:135], -v[136:137]
	v_fma_f64 v[46:47], v[162:163], s[4:5], v[64:65]
	v_fma_f64 v[50:51], v[162:163], s[6:7], v[64:65]
	v_add_f64 v[64:65], v[94:95], -v[22:23]
	v_fma_f64 v[88:89], v[130:131], -0.5, v[88:89]
	v_fma_f64 v[94:95], v[190:191], -0.5, v[4:5]
	v_add_co_u32 v216, vcc_lo, 0x7800, v170
	v_add_f64 v[26:27], v[146:147], v[158:159]
	v_fma_f64 v[146:147], v[148:149], -0.5, v[24:25]
	v_add_f64 v[24:25], v[52:53], v[56:57]
	v_fma_f64 v[52:53], v[106:107], s[6:7], v[12:13]
	v_fma_f64 v[56:57], v[106:107], s[4:5], v[12:13]
	v_add_f64 v[76:77], v[76:77], -v[102:103]
	v_add_f64 v[12:13], v[108:109], v[80:81]
	v_fma_f64 v[0:1], v[0:1], -0.5, v[86:87]
	v_fma_f64 v[108:109], v[60:61], -0.5, v[2:3]
	v_add_co_ci_u32_e32 v217, vcc_lo, 0, v171, vcc_lo
	v_add_co_u32 v218, vcc_lo, 0x1000, v170
	v_fma_f64 v[80:81], v[178:179], -0.5, v[90:91]
	v_add_f64 v[4:5], v[184:185], v[72:73]
	v_fma_f64 v[72:73], v[186:187], -0.5, v[6:7]
	v_add_co_ci_u32_e32 v219, vcc_lo, 0, v171, vcc_lo
	v_add_co_u32 v220, vcc_lo, 0x4800, v170
	v_add_f64 v[160:161], v[166:167], v[120:121]
	v_fma_f64 v[142:143], v[142:143], -0.5, v[154:155]
	v_add_f64 v[120:121], v[120:121], -v[124:125]
	v_fma_f64 v[148:149], v[112:113], -0.5, v[10:11]
	v_fma_f64 v[106:107], v[150:151], -0.5, v[166:167]
	;; [unrolled: 1-line block ×3, first 2 shown]
	v_add_co_ci_u32_e32 v221, vcc_lo, 0, v171, vcc_lo
	v_add_co_u32 v222, vcc_lo, 0x8000, v170
	v_fma_f64 v[118:119], v[96:97], -0.5, v[168:169]
	v_add_co_ci_u32_e32 v223, vcc_lo, 0, v171, vcc_lo
	v_add_co_u32 v224, vcc_lo, 0x2000, v170
	v_add_co_ci_u32_e32 v225, vcc_lo, 0, v171, vcc_lo
	v_add_co_u32 v226, vcc_lo, 0x5800, v170
	;; [unrolled: 2-line block ×3, first 2 shown]
	global_store_dwordx4 v[170:171], v[32:35], off
	global_store_dwordx4 v[170:171], v[14:17], off offset:1440
	global_store_dwordx4 v[212:213], v[28:31], off offset:832
	v_add_f64 v[34:35], v[156:157], v[136:137]
	v_add_f64 v[32:33], v[138:139], v[140:141]
	v_add_co_ci_u32_e32 v233, vcc_lo, 0, v171, vcc_lo
	v_add_f64 v[2:3], v[68:69], v[70:71]
	v_add_f64 v[70:71], v[82:83], v[102:103]
	;; [unrolled: 1-line block ×3, first 2 shown]
	v_add_co_u32 v228, vcc_lo, v244, v228
	v_fma_f64 v[86:87], v[132:133], s[4:5], v[88:89]
	v_fma_f64 v[90:91], v[132:133], s[6:7], v[88:89]
	;; [unrolled: 1-line block ×4, first 2 shown]
	v_add_co_ci_u32_e32 v229, vcc_lo, v245, v229, vcc_lo
	v_fma_f64 v[6:7], v[100:101], s[6:7], v[104:105]
	v_fma_f64 v[28:29], v[100:101], s[4:5], v[104:105]
	;; [unrolled: 1-line block ×6, first 2 shown]
	v_add_co_u32 v238, vcc_lo, 0x3800, v228
	v_fma_f64 v[104:105], v[182:183], s[6:7], v[80:81]
	v_fma_f64 v[102:103], v[188:189], s[4:5], v[72:73]
	;; [unrolled: 1-line block ×4, first 2 shown]
	v_add_co_ci_u32_e32 v239, vcc_lo, 0, v229, vcc_lo
	v_add_f64 v[16:17], v[160:161], v[124:125]
	v_add_f64 v[14:15], v[176:177], v[126:127]
	v_fma_f64 v[66:67], v[144:145], s[6:7], v[142:143]
	v_fma_f64 v[64:65], v[180:181], s[4:5], v[146:147]
	v_add_co_u32 v116, vcc_lo, v244, v234
	v_add_f64 v[10:11], v[78:79], v[114:115]
	v_fma_f64 v[62:63], v[144:145], s[4:5], v[142:143]
	v_fma_f64 v[60:61], v[180:181], s[6:7], v[146:147]
	;; [unrolled: 1-line block ×6, first 2 shown]
	v_add_co_ci_u32_e32 v117, vcc_lo, v245, v235, vcc_lo
	v_fma_f64 v[30:31], v[128:129], s[6:7], v[74:75]
	v_add_co_u32 v200, vcc_lo, 0x7000, v228
	v_fma_f64 v[8:9], v[128:129], s[4:5], v[74:75]
	v_fma_f64 v[74:75], v[110:111], s[4:5], v[118:119]
	v_fma_f64 v[112:113], v[110:111], s[6:7], v[118:119]
	v_fma_f64 v[110:111], v[122:123], s[4:5], v[148:149]
	v_lshlrev_b64 v[0:1], 4, v[92:93]
	v_fma_f64 v[72:73], v[122:123], s[6:7], v[148:149]
	v_add_co_ci_u32_e32 v201, vcc_lo, 0, v229, vcc_lo
	global_store_dwordx4 v[172:173], v[56:59], off offset:64
	global_store_dwordx4 v[174:175], v[52:55], off offset:128
	;; [unrolled: 1-line block ×12, first 2 shown]
	global_store_dwordx4 v[228:229], v[2:5], off
	global_store_dwordx4 v[238:239], v[102:105], off offset:64
	global_store_dwordx4 v[200:201], v[80:83], off offset:128
	;; [unrolled: 1-line block ×8, first 2 shown]
	global_store_dwordx4 v[116:117], v[24:27], off
	v_add_co_u32 v2, vcc_lo, 0x3800, v116
	v_add_co_ci_u32_e32 v3, vcc_lo, 0, v117, vcc_lo
	v_add_co_u32 v0, vcc_lo, v244, v0
	v_add_co_ci_u32_e32 v1, vcc_lo, v245, v1, vcc_lo
	;; [unrolled: 2-line block ×5, first 2 shown]
	global_store_dwordx4 v[2:3], v[64:67], off offset:64
	global_store_dwordx4 v[4:5], v[60:63], off offset:128
	global_store_dwordx4 v[0:1], v[18:21], off
	global_store_dwordx4 v[10:11], v[28:31], off offset:64
	global_store_dwordx4 v[12:13], v[6:9], off offset:128
.LBB0_13:
	s_endpgm
	.section	.rodata,"a",@progbits
	.p2align	6, 0x0
	.amdhsa_kernel fft_rtc_back_len2700_factors_3_10_10_3_3_wgs_90_tpt_90_halfLds_dp_ip_CI_unitstride_sbrr_dirReg
		.amdhsa_group_segment_fixed_size 0
		.amdhsa_private_segment_fixed_size 12
		.amdhsa_kernarg_size 88
		.amdhsa_user_sgpr_count 6
		.amdhsa_user_sgpr_private_segment_buffer 1
		.amdhsa_user_sgpr_dispatch_ptr 0
		.amdhsa_user_sgpr_queue_ptr 0
		.amdhsa_user_sgpr_kernarg_segment_ptr 1
		.amdhsa_user_sgpr_dispatch_id 0
		.amdhsa_user_sgpr_flat_scratch_init 0
		.amdhsa_user_sgpr_private_segment_size 0
		.amdhsa_wavefront_size32 1
		.amdhsa_uses_dynamic_stack 0
		.amdhsa_system_sgpr_private_segment_wavefront_offset 1
		.amdhsa_system_sgpr_workgroup_id_x 1
		.amdhsa_system_sgpr_workgroup_id_y 0
		.amdhsa_system_sgpr_workgroup_id_z 0
		.amdhsa_system_sgpr_workgroup_info 0
		.amdhsa_system_vgpr_workitem_id 0
		.amdhsa_next_free_vgpr 256
		.amdhsa_next_free_sgpr 28
		.amdhsa_reserve_vcc 1
		.amdhsa_reserve_flat_scratch 0
		.amdhsa_float_round_mode_32 0
		.amdhsa_float_round_mode_16_64 0
		.amdhsa_float_denorm_mode_32 3
		.amdhsa_float_denorm_mode_16_64 3
		.amdhsa_dx10_clamp 1
		.amdhsa_ieee_mode 1
		.amdhsa_fp16_overflow 0
		.amdhsa_workgroup_processor_mode 1
		.amdhsa_memory_ordered 1
		.amdhsa_forward_progress 0
		.amdhsa_shared_vgpr_count 0
		.amdhsa_exception_fp_ieee_invalid_op 0
		.amdhsa_exception_fp_denorm_src 0
		.amdhsa_exception_fp_ieee_div_zero 0
		.amdhsa_exception_fp_ieee_overflow 0
		.amdhsa_exception_fp_ieee_underflow 0
		.amdhsa_exception_fp_ieee_inexact 0
		.amdhsa_exception_int_div_zero 0
	.end_amdhsa_kernel
	.text
.Lfunc_end0:
	.size	fft_rtc_back_len2700_factors_3_10_10_3_3_wgs_90_tpt_90_halfLds_dp_ip_CI_unitstride_sbrr_dirReg, .Lfunc_end0-fft_rtc_back_len2700_factors_3_10_10_3_3_wgs_90_tpt_90_halfLds_dp_ip_CI_unitstride_sbrr_dirReg
                                        ; -- End function
	.section	.AMDGPU.csdata,"",@progbits
; Kernel info:
; codeLenInByte = 22108
; NumSgprs: 30
; NumVgprs: 256
; ScratchSize: 12
; MemoryBound: 1
; FloatMode: 240
; IeeeMode: 1
; LDSByteSize: 0 bytes/workgroup (compile time only)
; SGPRBlocks: 3
; VGPRBlocks: 31
; NumSGPRsForWavesPerEU: 30
; NumVGPRsForWavesPerEU: 256
; Occupancy: 4
; WaveLimiterHint : 1
; COMPUTE_PGM_RSRC2:SCRATCH_EN: 1
; COMPUTE_PGM_RSRC2:USER_SGPR: 6
; COMPUTE_PGM_RSRC2:TRAP_HANDLER: 0
; COMPUTE_PGM_RSRC2:TGID_X_EN: 1
; COMPUTE_PGM_RSRC2:TGID_Y_EN: 0
; COMPUTE_PGM_RSRC2:TGID_Z_EN: 0
; COMPUTE_PGM_RSRC2:TIDIG_COMP_CNT: 0
	.text
	.p2alignl 6, 3214868480
	.fill 48, 4, 3214868480
	.type	__hip_cuid_9e9d1e7c01e439f5,@object ; @__hip_cuid_9e9d1e7c01e439f5
	.section	.bss,"aw",@nobits
	.globl	__hip_cuid_9e9d1e7c01e439f5
__hip_cuid_9e9d1e7c01e439f5:
	.byte	0                               ; 0x0
	.size	__hip_cuid_9e9d1e7c01e439f5, 1

	.ident	"AMD clang version 19.0.0git (https://github.com/RadeonOpenCompute/llvm-project roc-6.4.0 25133 c7fe45cf4b819c5991fe208aaa96edf142730f1d)"
	.section	".note.GNU-stack","",@progbits
	.addrsig
	.addrsig_sym __hip_cuid_9e9d1e7c01e439f5
	.amdgpu_metadata
---
amdhsa.kernels:
  - .args:
      - .actual_access:  read_only
        .address_space:  global
        .offset:         0
        .size:           8
        .value_kind:     global_buffer
      - .offset:         8
        .size:           8
        .value_kind:     by_value
      - .actual_access:  read_only
        .address_space:  global
        .offset:         16
        .size:           8
        .value_kind:     global_buffer
      - .actual_access:  read_only
        .address_space:  global
        .offset:         24
        .size:           8
        .value_kind:     global_buffer
      - .offset:         32
        .size:           8
        .value_kind:     by_value
      - .actual_access:  read_only
        .address_space:  global
        .offset:         40
        .size:           8
        .value_kind:     global_buffer
      - .actual_access:  read_only
        .address_space:  global
        .offset:         48
        .size:           8
        .value_kind:     global_buffer
      - .offset:         56
        .size:           4
        .value_kind:     by_value
      - .actual_access:  read_only
        .address_space:  global
        .offset:         64
        .size:           8
        .value_kind:     global_buffer
      - .actual_access:  read_only
        .address_space:  global
        .offset:         72
        .size:           8
        .value_kind:     global_buffer
      - .address_space:  global
        .offset:         80
        .size:           8
        .value_kind:     global_buffer
    .group_segment_fixed_size: 0
    .kernarg_segment_align: 8
    .kernarg_segment_size: 88
    .language:       OpenCL C
    .language_version:
      - 2
      - 0
    .max_flat_workgroup_size: 90
    .name:           fft_rtc_back_len2700_factors_3_10_10_3_3_wgs_90_tpt_90_halfLds_dp_ip_CI_unitstride_sbrr_dirReg
    .private_segment_fixed_size: 12
    .sgpr_count:     30
    .sgpr_spill_count: 0
    .symbol:         fft_rtc_back_len2700_factors_3_10_10_3_3_wgs_90_tpt_90_halfLds_dp_ip_CI_unitstride_sbrr_dirReg.kd
    .uniform_work_group_size: 1
    .uses_dynamic_stack: false
    .vgpr_count:     256
    .vgpr_spill_count: 2
    .wavefront_size: 32
    .workgroup_processor_mode: 1
amdhsa.target:   amdgcn-amd-amdhsa--gfx1030
amdhsa.version:
  - 1
  - 2
...

	.end_amdgpu_metadata
